;; amdgpu-corpus repo=ROCm/rocFFT kind=compiled arch=gfx1030 opt=O3
	.text
	.amdgcn_target "amdgcn-amd-amdhsa--gfx1030"
	.amdhsa_code_object_version 6
	.protected	fft_rtc_fwd_len1683_factors_17_3_11_3_wgs_51_tpt_51_halfLds_half_ip_CI_unitstride_sbrr_dirReg ; -- Begin function fft_rtc_fwd_len1683_factors_17_3_11_3_wgs_51_tpt_51_halfLds_half_ip_CI_unitstride_sbrr_dirReg
	.globl	fft_rtc_fwd_len1683_factors_17_3_11_3_wgs_51_tpt_51_halfLds_half_ip_CI_unitstride_sbrr_dirReg
	.p2align	8
	.type	fft_rtc_fwd_len1683_factors_17_3_11_3_wgs_51_tpt_51_halfLds_half_ip_CI_unitstride_sbrr_dirReg,@function
fft_rtc_fwd_len1683_factors_17_3_11_3_wgs_51_tpt_51_halfLds_half_ip_CI_unitstride_sbrr_dirReg: ; @fft_rtc_fwd_len1683_factors_17_3_11_3_wgs_51_tpt_51_halfLds_half_ip_CI_unitstride_sbrr_dirReg
; %bb.0:
	s_clause 0x2
	s_load_dwordx4 s[8:11], s[4:5], 0x0
	s_load_dwordx2 s[2:3], s[4:5], 0x50
	s_load_dwordx2 s[12:13], s[4:5], 0x18
	v_mul_u32_u24_e32 v1, 0x506, v0
	v_mov_b32_e32 v3, 0
	v_add_nc_u32_sdwa v5, s6, v1 dst_sel:DWORD dst_unused:UNUSED_PAD src0_sel:DWORD src1_sel:WORD_1
	v_mov_b32_e32 v1, 0
	v_mov_b32_e32 v6, v3
	v_mov_b32_e32 v2, 0
	s_waitcnt lgkmcnt(0)
	v_cmp_lt_u64_e64 s0, s[10:11], 2
	s_and_b32 vcc_lo, exec_lo, s0
	s_cbranch_vccnz .LBB0_8
; %bb.1:
	s_load_dwordx2 s[0:1], s[4:5], 0x10
	v_mov_b32_e32 v1, 0
	s_add_u32 s6, s12, 8
	v_mov_b32_e32 v2, 0
	s_addc_u32 s7, s13, 0
	s_mov_b64 s[16:17], 1
	s_waitcnt lgkmcnt(0)
	s_add_u32 s14, s0, 8
	s_addc_u32 s15, s1, 0
.LBB0_2:                                ; =>This Inner Loop Header: Depth=1
	s_load_dwordx2 s[18:19], s[14:15], 0x0
                                        ; implicit-def: $vgpr7_vgpr8
	s_mov_b32 s0, exec_lo
	s_waitcnt lgkmcnt(0)
	v_or_b32_e32 v4, s19, v6
	v_cmpx_ne_u64_e32 0, v[3:4]
	s_xor_b32 s1, exec_lo, s0
	s_cbranch_execz .LBB0_4
; %bb.3:                                ;   in Loop: Header=BB0_2 Depth=1
	v_cvt_f32_u32_e32 v4, s18
	v_cvt_f32_u32_e32 v7, s19
	s_sub_u32 s0, 0, s18
	s_subb_u32 s20, 0, s19
	v_fmac_f32_e32 v4, 0x4f800000, v7
	v_rcp_f32_e32 v4, v4
	v_mul_f32_e32 v4, 0x5f7ffffc, v4
	v_mul_f32_e32 v7, 0x2f800000, v4
	v_trunc_f32_e32 v7, v7
	v_fmac_f32_e32 v4, 0xcf800000, v7
	v_cvt_u32_f32_e32 v7, v7
	v_cvt_u32_f32_e32 v4, v4
	v_mul_lo_u32 v8, s0, v7
	v_mul_hi_u32 v9, s0, v4
	v_mul_lo_u32 v10, s20, v4
	v_add_nc_u32_e32 v8, v9, v8
	v_mul_lo_u32 v9, s0, v4
	v_add_nc_u32_e32 v8, v8, v10
	v_mul_hi_u32 v10, v4, v9
	v_mul_lo_u32 v11, v4, v8
	v_mul_hi_u32 v12, v4, v8
	v_mul_hi_u32 v13, v7, v9
	v_mul_lo_u32 v9, v7, v9
	v_mul_hi_u32 v14, v7, v8
	v_mul_lo_u32 v8, v7, v8
	v_add_co_u32 v10, vcc_lo, v10, v11
	v_add_co_ci_u32_e32 v11, vcc_lo, 0, v12, vcc_lo
	v_add_co_u32 v9, vcc_lo, v10, v9
	v_add_co_ci_u32_e32 v9, vcc_lo, v11, v13, vcc_lo
	v_add_co_ci_u32_e32 v10, vcc_lo, 0, v14, vcc_lo
	v_add_co_u32 v8, vcc_lo, v9, v8
	v_add_co_ci_u32_e32 v9, vcc_lo, 0, v10, vcc_lo
	v_add_co_u32 v4, vcc_lo, v4, v8
	v_add_co_ci_u32_e32 v7, vcc_lo, v7, v9, vcc_lo
	v_mul_hi_u32 v8, s0, v4
	v_mul_lo_u32 v10, s20, v4
	v_mul_lo_u32 v9, s0, v7
	v_add_nc_u32_e32 v8, v8, v9
	v_mul_lo_u32 v9, s0, v4
	v_add_nc_u32_e32 v8, v8, v10
	v_mul_hi_u32 v10, v4, v9
	v_mul_lo_u32 v11, v4, v8
	v_mul_hi_u32 v12, v4, v8
	v_mul_hi_u32 v13, v7, v9
	v_mul_lo_u32 v9, v7, v9
	v_mul_hi_u32 v14, v7, v8
	v_mul_lo_u32 v8, v7, v8
	v_add_co_u32 v10, vcc_lo, v10, v11
	v_add_co_ci_u32_e32 v11, vcc_lo, 0, v12, vcc_lo
	v_add_co_u32 v9, vcc_lo, v10, v9
	v_add_co_ci_u32_e32 v9, vcc_lo, v11, v13, vcc_lo
	v_add_co_ci_u32_e32 v10, vcc_lo, 0, v14, vcc_lo
	v_add_co_u32 v8, vcc_lo, v9, v8
	v_add_co_ci_u32_e32 v9, vcc_lo, 0, v10, vcc_lo
	v_add_co_u32 v4, vcc_lo, v4, v8
	v_add_co_ci_u32_e32 v11, vcc_lo, v7, v9, vcc_lo
	v_mul_hi_u32 v13, v5, v4
	v_mad_u64_u32 v[9:10], null, v6, v4, 0
	v_mad_u64_u32 v[7:8], null, v5, v11, 0
	;; [unrolled: 1-line block ×3, first 2 shown]
	v_add_co_u32 v4, vcc_lo, v13, v7
	v_add_co_ci_u32_e32 v7, vcc_lo, 0, v8, vcc_lo
	v_add_co_u32 v4, vcc_lo, v4, v9
	v_add_co_ci_u32_e32 v4, vcc_lo, v7, v10, vcc_lo
	v_add_co_ci_u32_e32 v7, vcc_lo, 0, v12, vcc_lo
	v_add_co_u32 v4, vcc_lo, v4, v11
	v_add_co_ci_u32_e32 v9, vcc_lo, 0, v7, vcc_lo
	v_mul_lo_u32 v10, s19, v4
	v_mad_u64_u32 v[7:8], null, s18, v4, 0
	v_mul_lo_u32 v11, s18, v9
	v_sub_co_u32 v7, vcc_lo, v5, v7
	v_add3_u32 v8, v8, v11, v10
	v_sub_nc_u32_e32 v10, v6, v8
	v_subrev_co_ci_u32_e64 v10, s0, s19, v10, vcc_lo
	v_add_co_u32 v11, s0, v4, 2
	v_add_co_ci_u32_e64 v12, s0, 0, v9, s0
	v_sub_co_u32 v13, s0, v7, s18
	v_sub_co_ci_u32_e32 v8, vcc_lo, v6, v8, vcc_lo
	v_subrev_co_ci_u32_e64 v10, s0, 0, v10, s0
	v_cmp_le_u32_e32 vcc_lo, s18, v13
	v_cmp_eq_u32_e64 s0, s19, v8
	v_cndmask_b32_e64 v13, 0, -1, vcc_lo
	v_cmp_le_u32_e32 vcc_lo, s19, v10
	v_cndmask_b32_e64 v14, 0, -1, vcc_lo
	v_cmp_le_u32_e32 vcc_lo, s18, v7
	;; [unrolled: 2-line block ×3, first 2 shown]
	v_cndmask_b32_e64 v15, 0, -1, vcc_lo
	v_cmp_eq_u32_e32 vcc_lo, s19, v10
	v_cndmask_b32_e64 v7, v15, v7, s0
	v_cndmask_b32_e32 v10, v14, v13, vcc_lo
	v_add_co_u32 v13, vcc_lo, v4, 1
	v_add_co_ci_u32_e32 v14, vcc_lo, 0, v9, vcc_lo
	v_cmp_ne_u32_e32 vcc_lo, 0, v10
	v_cndmask_b32_e32 v8, v14, v12, vcc_lo
	v_cndmask_b32_e32 v10, v13, v11, vcc_lo
	v_cmp_ne_u32_e32 vcc_lo, 0, v7
	v_cndmask_b32_e32 v8, v9, v8, vcc_lo
	v_cndmask_b32_e32 v7, v4, v10, vcc_lo
.LBB0_4:                                ;   in Loop: Header=BB0_2 Depth=1
	s_andn2_saveexec_b32 s0, s1
	s_cbranch_execz .LBB0_6
; %bb.5:                                ;   in Loop: Header=BB0_2 Depth=1
	v_cvt_f32_u32_e32 v4, s18
	s_sub_i32 s1, 0, s18
	v_rcp_iflag_f32_e32 v4, v4
	v_mul_f32_e32 v4, 0x4f7ffffe, v4
	v_cvt_u32_f32_e32 v4, v4
	v_mul_lo_u32 v7, s1, v4
	v_mul_hi_u32 v7, v4, v7
	v_add_nc_u32_e32 v4, v4, v7
	v_mul_hi_u32 v4, v5, v4
	v_mul_lo_u32 v7, v4, s18
	v_add_nc_u32_e32 v8, 1, v4
	v_sub_nc_u32_e32 v7, v5, v7
	v_subrev_nc_u32_e32 v9, s18, v7
	v_cmp_le_u32_e32 vcc_lo, s18, v7
	v_cndmask_b32_e32 v7, v7, v9, vcc_lo
	v_cndmask_b32_e32 v4, v4, v8, vcc_lo
	v_cmp_le_u32_e32 vcc_lo, s18, v7
	v_add_nc_u32_e32 v8, 1, v4
	v_cndmask_b32_e32 v7, v4, v8, vcc_lo
	v_mov_b32_e32 v8, v3
.LBB0_6:                                ;   in Loop: Header=BB0_2 Depth=1
	s_or_b32 exec_lo, exec_lo, s0
	s_load_dwordx2 s[0:1], s[6:7], 0x0
	v_mul_lo_u32 v4, v8, s18
	v_mul_lo_u32 v11, v7, s19
	v_mad_u64_u32 v[9:10], null, v7, s18, 0
	s_add_u32 s16, s16, 1
	s_addc_u32 s17, s17, 0
	s_add_u32 s6, s6, 8
	s_addc_u32 s7, s7, 0
	;; [unrolled: 2-line block ×3, first 2 shown]
	v_add3_u32 v4, v10, v11, v4
	v_sub_co_u32 v5, vcc_lo, v5, v9
	v_sub_co_ci_u32_e32 v4, vcc_lo, v6, v4, vcc_lo
	s_waitcnt lgkmcnt(0)
	v_mul_lo_u32 v6, s1, v5
	v_mul_lo_u32 v4, s0, v4
	v_mad_u64_u32 v[1:2], null, s0, v5, v[1:2]
	v_cmp_ge_u64_e64 s0, s[16:17], s[10:11]
	s_and_b32 vcc_lo, exec_lo, s0
	v_add3_u32 v2, v6, v2, v4
	s_cbranch_vccnz .LBB0_9
; %bb.7:                                ;   in Loop: Header=BB0_2 Depth=1
	v_mov_b32_e32 v5, v7
	v_mov_b32_e32 v6, v8
	s_branch .LBB0_2
.LBB0_8:
	v_mov_b32_e32 v8, v6
	v_mov_b32_e32 v7, v5
.LBB0_9:
	s_lshl_b64 s[0:1], s[10:11], 3
	v_mul_hi_u32 v3, 0x5050506, v0
	s_add_u32 s0, s12, s0
	s_addc_u32 s1, s13, s1
	v_mov_b32_e32 v12, 0
	s_load_dwordx2 s[0:1], s[0:1], 0x0
	s_load_dwordx2 s[4:5], s[4:5], 0x20
                                        ; implicit-def: $vgpr70
                                        ; implicit-def: $vgpr67
                                        ; implicit-def: $vgpr45
                                        ; implicit-def: $vgpr68
                                        ; implicit-def: $vgpr46
                                        ; implicit-def: $vgpr66
                                        ; implicit-def: $vgpr47
                                        ; implicit-def: $vgpr65
                                        ; implicit-def: $vgpr48
                                        ; implicit-def: $vgpr64
                                        ; implicit-def: $vgpr49
                                        ; implicit-def: $vgpr62
                                        ; implicit-def: $vgpr50
                                        ; implicit-def: $vgpr61
                                        ; implicit-def: $vgpr51
                                        ; implicit-def: $vgpr11
                                        ; implicit-def: $vgpr52
                                        ; implicit-def: $vgpr10
                                        ; implicit-def: $vgpr53
                                        ; implicit-def: $vgpr9
                                        ; implicit-def: $vgpr54
                                        ; implicit-def: $vgpr55
                                        ; implicit-def: $vgpr56
                                        ; implicit-def: $vgpr6
                                        ; implicit-def: $vgpr57
                                        ; implicit-def: $vgpr58
                                        ; implicit-def: $vgpr44
                                        ; implicit-def: $vgpr32
                                        ; implicit-def: $vgpr43
                                        ; implicit-def: $vgpr31
                                        ; implicit-def: $vgpr40
                                        ; implicit-def: $vgpr30
                                        ; implicit-def: $vgpr39
                                        ; implicit-def: $vgpr28
                                        ; implicit-def: $vgpr38
                                        ; implicit-def: $vgpr27
                                        ; implicit-def: $vgpr34
                                        ; implicit-def: $vgpr25
                                        ; implicit-def: $vgpr22
                                        ; implicit-def: $vgpr23
                                        ; implicit-def: $vgpr21
                                        ; implicit-def: $vgpr24
                                        ; implicit-def: $vgpr20
                                        ; implicit-def: $vgpr26
                                        ; implicit-def: $vgpr19
                                        ; implicit-def: $vgpr29
                                        ; implicit-def: $vgpr13
                                        ; implicit-def: $vgpr42
                                        ; implicit-def: $vgpr14
                                        ; implicit-def: $vgpr41
                                        ; implicit-def: $vgpr15
                                        ; implicit-def: $vgpr37
                                        ; implicit-def: $vgpr16
                                        ; implicit-def: $vgpr36
                                        ; implicit-def: $vgpr17
                                        ; implicit-def: $vgpr35
                                        ; implicit-def: $vgpr18
                                        ; implicit-def: $vgpr33
                                        ; implicit-def: $vgpr63
                                        ; implicit-def: $vgpr60
                                        ; implicit-def: $vgpr69
                                        ; implicit-def: $vgpr59
	v_mul_u32_u24_e32 v3, 51, v3
	v_sub_nc_u32_e32 v0, v0, v3
	s_waitcnt lgkmcnt(0)
	v_mul_lo_u32 v4, s0, v8
	v_mul_lo_u32 v5, s1, v7
	v_mad_u64_u32 v[1:2], null, s0, v7, v[1:2]
	v_cmp_gt_u64_e32 vcc_lo, s[4:5], v[7:8]
                                        ; implicit-def: $vgpr8
                                        ; implicit-def: $vgpr7
	v_add3_u32 v2, v5, v2, v4
                                        ; implicit-def: $vgpr4
                                        ; implicit-def: $vgpr5
	v_lshlrev_b64 v[2:3], 2, v[1:2]
	v_mov_b32_e32 v1, 0
	s_and_saveexec_b32 s1, vcc_lo
	s_cbranch_execz .LBB0_13
; %bb.10:
	v_mov_b32_e32 v1, 0
	v_add_co_u32 v61, s0, s2, v2
	v_add_co_ci_u32_e64 v62, s0, s3, v3, s0
	v_lshlrev_b64 v[4:5], 2, v[0:1]
	v_mov_b32_e32 v12, 0
                                        ; implicit-def: $vgpr33
                                        ; implicit-def: $vgpr18
                                        ; implicit-def: $vgpr35
                                        ; implicit-def: $vgpr17
                                        ; implicit-def: $vgpr36
                                        ; implicit-def: $vgpr16
                                        ; implicit-def: $vgpr37
                                        ; implicit-def: $vgpr15
                                        ; implicit-def: $vgpr41
                                        ; implicit-def: $vgpr14
                                        ; implicit-def: $vgpr42
                                        ; implicit-def: $vgpr13
                                        ; implicit-def: $vgpr29
                                        ; implicit-def: $vgpr19
                                        ; implicit-def: $vgpr26
                                        ; implicit-def: $vgpr20
                                        ; implicit-def: $vgpr24
                                        ; implicit-def: $vgpr21
                                        ; implicit-def: $vgpr23
                                        ; implicit-def: $vgpr22
                                        ; implicit-def: $vgpr25
                                        ; implicit-def: $vgpr34
                                        ; implicit-def: $vgpr27
                                        ; implicit-def: $vgpr38
                                        ; implicit-def: $vgpr28
                                        ; implicit-def: $vgpr39
                                        ; implicit-def: $vgpr30
                                        ; implicit-def: $vgpr40
                                        ; implicit-def: $vgpr31
                                        ; implicit-def: $vgpr43
                                        ; implicit-def: $vgpr32
                                        ; implicit-def: $vgpr44
	v_add_co_u32 v4, s0, v61, v4
	v_add_co_ci_u32_e64 v5, s0, v62, v5, s0
	v_add_co_u32 v6, s0, 0x800, v4
	v_add_co_ci_u32_e64 v7, s0, 0, v5, s0
	;; [unrolled: 2-line block ×3, first 2 shown]
	v_add_co_u32 v10, s0, 0x1800, v4
	s_clause 0x7
	global_load_dword v70, v[4:5], off
	global_load_dword v45, v[4:5], off offset:396
	global_load_dword v46, v[4:5], off offset:792
	;; [unrolled: 1-line block ×7, first 2 shown]
	v_add_co_ci_u32_e64 v11, s0, 0, v5, s0
	s_clause 0x8
	global_load_dword v52, v[6:7], off offset:1120
	global_load_dword v59, v[6:7], off offset:1516
	;; [unrolled: 1-line block ×9, first 2 shown]
	v_cmp_gt_u32_e64 s0, 48, v0
	s_and_saveexec_b32 s4, s0
	s_cbranch_execz .LBB0_12
; %bb.11:
	v_or_b32_e32 v12, 0x600, v0
	v_mov_b32_e32 v13, v1
	s_clause 0x7
	global_load_dword v1, v[4:5], off offset:204
	global_load_dword v32, v[4:5], off offset:600
	;; [unrolled: 1-line block ×8, first 2 shown]
	v_lshlrev_b64 v[12:13], 2, v[12:13]
	v_add_co_u32 v4, s0, v61, v12
	v_add_co_ci_u32_e64 v5, s0, v62, v13, s0
	s_clause 0x8
	global_load_dword v24, v[6:7], off offset:1324
	global_load_dword v26, v[6:7], off offset:1720
	;; [unrolled: 1-line block ×8, first 2 shown]
	global_load_dword v41, v[4:5], off
	s_waitcnt vmcnt(16)
	v_lshrrev_b32_e32 v12, 16, v1
	s_waitcnt vmcnt(15)
	v_lshrrev_b32_e32 v44, 16, v32
	;; [unrolled: 2-line block ×17, first 2 shown]
.LBB0_12:
	s_or_b32 exec_lo, exec_lo, s4
	s_waitcnt vmcnt(16)
	v_lshrrev_b32_e32 v4, 16, v70
	s_waitcnt vmcnt(15)
	v_lshrrev_b32_e32 v67, 16, v45
	;; [unrolled: 2-line block ×17, first 2 shown]
.LBB0_13:
	s_or_b32 exec_lo, exec_lo, s1
	v_add_f16_e32 v71, v45, v58
	v_sub_f16_e32 v74, v67, v5
	v_add_f16_e32 v73, v46, v57
	v_sub_f16_e32 v75, v68, v6
	v_add_f16_e32 v76, v47, v56
	v_pk_mul_f16 v87, 0x2de83722, v71 op_sel_hi:[1,0]
	v_sub_f16_e32 v77, v66, v7
	v_pk_mul_f16 v92, 0xbbddb8d2, v73 op_sel_hi:[1,0]
	v_add_f16_e32 v78, v48, v55
	v_pk_mul_f16 v96, 0xb461bbdd, v76 op_sel_hi:[1,0]
	v_pk_fma_f16 v91, 0xbbf7bb29, v74, v87 op_sel_hi:[1,0,1] neg_lo:[0,1,0] neg_hi:[0,1,0]
	v_sub_f16_e32 v79, v65, v8
	v_pk_fma_f16 v95, 0xb1e1ba62, v75, v92 op_sel_hi:[1,0,1] neg_lo:[0,1,0] neg_hi:[0,1,0]
	v_pk_mul_f16 v84, 0x39e93b76, v71 op_sel_hi:[1,0]
	v_pk_mul_f16 v98, 0x3b76b461, v78 op_sel_hi:[1,0]
	v_pk_add_f16 v91, v91, v70 op_sel_hi:[1,0]
	v_pk_mul_f16 v89, 0x2de839e9, v73 op_sel_hi:[1,0]
	v_add_f16_e32 v80, v49, v54
	v_pk_fma_f16 v72, 0xb964b5c8, v74, v84 op_sel_hi:[1,0,1] neg_lo:[0,1,0] neg_hi:[0,1,0]
	v_pk_mul_f16 v94, 0xb8d23722, v76 op_sel_hi:[1,0]
	v_pk_add_f16 v91, v95, v91
	v_pk_fma_f16 v95, 0x3bb231e1, v77, v96 op_sel_hi:[1,0,1] neg_lo:[0,1,0] neg_hi:[0,1,0]
	v_pk_fma_f16 v93, 0xbbf7b964, v75, v89 op_sel_hi:[1,0,1] neg_lo:[0,1,0] neg_hi:[0,1,0]
	v_pk_add_f16 v72, v72, v70 op_sel_hi:[1,0]
	v_sub_f16_e32 v81, v64, v9
	v_add_f16_e32 v82, v50, v53
	v_pk_add_f16 v91, v95, v91
	v_pk_fma_f16 v95, 0x35c83bb2, v79, v98 op_sel_hi:[1,0,1] neg_lo:[0,1,0] neg_hi:[0,1,0]
	v_pk_add_f16 v72, v93, v72
	v_pk_fma_f16 v93, 0xba62bb29, v77, v94 op_sel_hi:[1,0,1] neg_lo:[0,1,0] neg_hi:[0,1,0]
	v_pk_mul_f16 v97, 0xbbdd2de8, v78 op_sel_hi:[1,0]
	v_pk_mul_f16 v100, 0x372239e9, v80 op_sel_hi:[1,0]
	v_pk_add_f16 v91, v95, v91
	v_pk_mul_f16 v95, 0xb8d2b461, v71 op_sel_hi:[1,0]
	v_pk_mul_f16 v105, 0xb461bacd, v73 op_sel_hi:[1,0]
	v_sub_f16_e32 v83, v62, v10
	v_pk_add_f16 v72, v93, v72
	v_pk_fma_f16 v93, 0xb1e1bbf7, v79, v97 op_sel_hi:[1,0,1] neg_lo:[0,1,0] neg_hi:[0,1,0]
	v_pk_fma_f16 v104, 0xba62bbb2, v74, v95 op_sel_hi:[1,0,1] neg_lo:[0,1,0] neg_hi:[0,1,0]
	v_pk_mul_f16 v99, 0xbacdb461, v80 op_sel_hi:[1,0]
	v_pk_fma_f16 v102, 0xbb293964, v81, v100 op_sel_hi:[1,0,1] neg_lo:[0,1,0] neg_hi:[0,1,0]
	v_pk_mul_f16 v103, 0xbacd3b76, v82 op_sel_hi:[1,0]
	v_pk_fma_f16 v107, 0x3bb23836, v75, v105 op_sel_hi:[1,0,1] neg_lo:[0,1,0] neg_hi:[0,1,0]
	v_pk_add_f16 v104, v104, v70 op_sel_hi:[1,0]
	v_pk_mul_f16 v108, 0x3b7639e9, v76 op_sel_hi:[1,0]
	v_add_f16_e32 v85, v60, v51
	v_pk_add_f16 v72, v93, v72
	v_pk_fma_f16 v93, 0x3836bbb2, v81, v99 op_sel_hi:[1,0,1] neg_lo:[0,1,0] neg_hi:[0,1,0]
	v_pk_mul_f16 v101, 0xb461b8d2, v82 op_sel_hi:[1,0]
	v_pk_add_f16 v91, v102, v91
	v_pk_fma_f16 v102, 0xb836b5c8, v83, v103 op_sel_hi:[1,0,1] neg_lo:[0,1,0] neg_hi:[0,1,0]
	v_pk_add_f16 v104, v107, v104
	v_pk_fma_f16 v107, 0xb5c83964, v77, v108 op_sel_hi:[1,0,1] neg_lo:[0,1,0] neg_hi:[0,1,0]
	v_add_f16_e32 v110, v70, v45
	v_sub_f16_e32 v86, v61, v63
	v_pk_add_f16 v72, v93, v72
	v_pk_fma_f16 v93, 0x3bb2ba62, v83, v101 op_sel_hi:[1,0,1] neg_lo:[0,1,0] neg_hi:[0,1,0]
	v_pk_mul_f16 v106, 0x3722bacd, v85 op_sel_hi:[1,0]
	v_pk_add_f16 v91, v102, v91
	v_pk_add_f16 v102, v107, v104
	v_add_f16_e32 v104, v110, v46
	v_pk_add_f16 v72, v93, v72
	v_pk_fma_f16 v93, 0x3b29b836, v86, v106 op_sel_hi:[1,0,1] neg_lo:[0,1,0] neg_hi:[0,1,0]
	v_pk_mul_f16 v111, 0xbacd3722, v78 op_sel_hi:[1,0]
	v_pk_mul_f16 v110, 0x2de8bbdd, v80 op_sel_hi:[1,0]
	v_add_f16_e32 v104, v104, v47
	v_add_f16_e32 v88, v59, v52
	v_pk_add_f16 v72, v72, v93
	v_pk_fma_f16 v107, 0xb836bb29, v79, v111 op_sel_hi:[1,0,1] neg_lo:[0,1,0] neg_hi:[0,1,0]
	v_pk_mul_f16 v109, 0xb8d22de8, v85 op_sel_hi:[1,0]
	v_add_f16_e32 v93, v104, v48
	v_pk_mul_f16 v115, 0x39e92de8, v82 op_sel_hi:[1,0]
	v_sub_f16_e32 v90, v11, v69
	v_pk_add_f16 v102, v107, v102
	v_pk_fma_f16 v107, 0x3bf7b1e1, v81, v110 op_sel_hi:[1,0,1] neg_lo:[0,1,0] neg_hi:[0,1,0]
	v_add_f16_e32 v93, v93, v49
	v_pk_mul_f16 v112, 0x3b76bbdd, v88 op_sel_hi:[1,0]
	v_pk_fma_f16 v113, 0x3a62bbf7, v86, v109 op_sel_hi:[1,0,1] neg_lo:[0,1,0] neg_hi:[0,1,0]
	v_pk_mul_f16 v114, 0x39e9bacd, v88 op_sel_hi:[1,0]
	v_pk_add_f16 v102, v107, v102
	v_add_f16_e32 v93, v93, v50
	v_pk_fma_f16 v107, 0xb9643bf7, v83, v115 op_sel_hi:[1,0,1] neg_lo:[0,1,0] neg_hi:[0,1,0]
	v_pk_mul_f16 v116, 0xbbdd3b76, v85 op_sel_hi:[1,0]
	v_pk_fma_f16 v104, 0x35c8b1e1, v90, v112 op_sel_hi:[1,0,1] neg_lo:[0,1,0] neg_hi:[0,1,0]
	v_pk_add_f16 v91, v91, v113
	v_add_f16_e32 v93, v93, v51
	v_pk_fma_f16 v113, 0x3964b836, v90, v114 op_sel_hi:[1,0,1] neg_lo:[0,1,0] neg_hi:[0,1,0]
	v_pk_add_f16 v102, v107, v102
	v_pk_fma_f16 v107, 0xb1e1b5c8, v86, v116 op_sel_hi:[1,0,1] neg_lo:[0,1,0] neg_hi:[0,1,0]
	v_pk_mul_f16 v117, 0xbbddbacd, v71 op_sel_hi:[1,0]
	v_add_f16_e32 v93, v93, v52
	v_pk_add_f16 v71, v72, v104
	v_pk_add_f16 v72, v91, v113
	;; [unrolled: 1-line block ×3, first 2 shown]
	v_pk_fma_f16 v102, 0xb1e1b836, v74, v117 op_sel_hi:[1,0,1] neg_lo:[0,1,0] neg_hi:[0,1,0]
	v_pk_mul_f16 v73, 0x3b763722, v73 op_sel_hi:[1,0]
	v_pk_fma_f16 v107, 0xb1e1b836, v74, v117 op_sel_hi:[1,0,1]
	v_add_f16_e32 v93, v93, v59
	v_pk_mul_f16 v76, 0xbacd2de8, v76 op_sel_hi:[1,0]
	v_pk_add_f16 v102, v102, v70 op_sel_hi:[1,0]
	v_pk_fma_f16 v113, 0x35c83b29, v75, v73 op_sel_hi:[1,0,1] neg_lo:[0,1,0] neg_hi:[0,1,0]
	v_pk_add_f16 v107, v107, v70 op_sel_hi:[1,0]
	v_pk_fma_f16 v73, 0x35c83b29, v75, v73 op_sel_hi:[1,0,1]
	v_add_f16_e32 v93, v60, v93
	v_pk_mul_f16 v78, 0x39e9b8d2, v78 op_sel_hi:[1,0]
	v_pk_add_f16 v102, v113, v102
	v_pk_fma_f16 v113, 0xb836bbf7, v77, v76 op_sel_hi:[1,0,1] neg_lo:[0,1,0] neg_hi:[0,1,0]
	v_pk_add_f16 v73, v73, v107
	v_pk_fma_f16 v76, 0xb836bbf7, v77, v76 op_sel_hi:[1,0,1]
	v_add_f16_e32 v93, v93, v53
	v_pk_fma_f16 v107, 0x39643a62, v79, v78 op_sel_hi:[1,0,1] neg_lo:[0,1,0] neg_hi:[0,1,0]
	v_pk_add_f16 v102, v113, v102
	v_pk_mul_f16 v80, 0xb8d23b76, v80 op_sel_hi:[1,0]
	v_pk_add_f16 v73, v76, v73
	v_pk_fma_f16 v76, 0x39643a62, v79, v78 op_sel_hi:[1,0,1]
	v_add_f16_e32 v93, v93, v54
	v_pk_add_f16 v78, v107, v102
	v_pk_fma_f16 v102, 0xba62b5c8, v81, v80 op_sel_hi:[1,0,1] neg_lo:[0,1,0] neg_hi:[0,1,0]
	v_pk_mul_f16 v82, 0x3722bbdd, v82 op_sel_hi:[1,0]
	v_pk_add_f16 v73, v76, v73
	v_pk_fma_f16 v76, 0xba62b5c8, v81, v80 op_sel_hi:[1,0,1]
	v_add_f16_e32 v80, v93, v55
	v_pk_add_f16 v78, v102, v78
	v_pk_fma_f16 v93, 0x3b29b1e1, v83, v82 op_sel_hi:[1,0,1] neg_lo:[0,1,0] neg_hi:[0,1,0]
	v_pk_mul_f16 v85, 0xb46139e9, v85 op_sel_hi:[1,0]
	v_pk_add_f16 v73, v76, v73
	v_add_f16_e32 v76, v80, v56
	v_pk_fma_f16 v80, 0x3b29b1e1, v83, v82 op_sel_hi:[1,0,1]
	v_pk_mul_f16 v104, 0x3722b8d2, v88 op_sel_hi:[1,0]
	v_pk_add_f16 v78, v93, v78
	v_pk_fma_f16 v93, 0xbbb23964, v86, v85 op_sel_hi:[1,0,1] neg_lo:[0,1,0] neg_hi:[0,1,0]
	v_pk_fma_f16 v85, 0xbbb23964, v86, v85 op_sel_hi:[1,0,1]
	v_pk_add_f16 v80, v80, v73
	v_pk_fma_f16 v82, 0x3b29ba62, v90, v104 op_sel_hi:[1,0,1] neg_lo:[0,1,0] neg_hi:[0,1,0]
	v_pk_fma_f16 v87, 0xbbf7bb29, v74, v87 op_sel_hi:[1,0,1]
	v_pk_fma_f16 v92, 0xb1e1ba62, v75, v92 op_sel_hi:[1,0,1]
	v_pk_mul_f16 v88, 0x2de8b461, v88 op_sel_hi:[1,0]
	v_pk_add_f16 v80, v80, v85
	v_pk_fma_f16 v85, 0xba62bbb2, v74, v95 op_sel_hi:[1,0,1]
	v_pk_fma_f16 v74, 0xb964b5c8, v74, v84 op_sel_hi:[1,0,1]
	v_pk_add_f16 v73, v91, v82
	v_pk_fma_f16 v91, 0x3bb23836, v75, v105 op_sel_hi:[1,0,1]
	v_pk_add_f16 v87, v87, v70 op_sel_hi:[1,0]
	v_pk_add_f16 v85, v85, v70 op_sel_hi:[1,0]
	;; [unrolled: 1-line block ×3, first 2 shown]
	v_pk_fma_f16 v74, 0xbbf7b964, v75, v89 op_sel_hi:[1,0,1]
	v_pk_fma_f16 v89, 0x3bb231e1, v77, v96 op_sel_hi:[1,0,1]
	v_pk_add_f16 v87, v92, v87
	v_pk_add_f16 v75, v91, v85
	v_pk_fma_f16 v85, 0xb5c83964, v77, v108 op_sel_hi:[1,0,1]
	v_pk_add_f16 v70, v74, v70
	v_pk_fma_f16 v74, 0xba62bb29, v77, v94 op_sel_hi:[1,0,1]
	v_pk_fma_f16 v77, 0xb836bb29, v79, v111 op_sel_hi:[1,0,1]
	;; [unrolled: 1-line block ×3, first 2 shown]
	v_pk_add_f16 v75, v85, v75
	v_pk_add_f16 v85, v89, v87
	v_pk_fma_f16 v87, 0x35c83bb2, v79, v98 op_sel_hi:[1,0,1]
	v_pk_add_f16 v70, v74, v70
	v_pk_fma_f16 v74, 0xb1e1bbf7, v79, v97 op_sel_hi:[1,0,1]
	;; [unrolled: 2-line block ×14, first 2 shown]
	v_add_f16_e32 v76, v76, v57
	v_pk_add_f16 v78, v78, v93
	v_pk_fma_f16 v83, 0x3bf7bbb2, v90, v88 op_sel_hi:[1,0,1] neg_lo:[0,1,0] neg_hi:[0,1,0]
	v_pk_add_f16 v80, v80, v84
	v_pk_add_f16 v75, v75, v77
	;; [unrolled: 1-line block ×4, first 2 shown]
	v_add_f16_e32 v82, v76, v58
	v_mad_u32_u24 v76, v0, 34, 0
	v_cmp_gt_u32_e64 s0, 48, v0
	v_pk_add_f16 v74, v78, v83
	v_alignbit_b32 v77, v80, v80, 16
	v_alignbit_b32 v78, v75, v75, 16
	;; [unrolled: 1-line block ×4, first 2 shown]
	ds_write_b16 v76, v82
	ds_write_b128 v76, v[71:74] offset:2
	ds_write_b128 v76, v[77:80] offset:18
	s_and_saveexec_b32 s1, s0
	s_cbranch_execz .LBB0_15
; %bb.14:
	v_add_f16_e32 v70, v1, v32
	v_add_f16_e32 v72, v32, v42
	v_sub_f16_e32 v73, v44, v13
	v_add_f16_e32 v74, v31, v41
	v_sub_f16_e32 v75, v43, v14
	v_add_f16_e32 v70, v70, v31
	v_pk_mul_f16 v89, 0x39e93b76, v72 op_sel_hi:[1,0]
	v_add_f16_e32 v77, v30, v37
	v_pk_mul_f16 v90, 0x2de839e9, v74 op_sel_hi:[1,0]
	v_pk_mul_f16 v97, 0x2de83722, v72 op_sel_hi:[1,0]
	v_add_f16_e32 v70, v70, v30
	v_pk_fma_f16 v71, 0xb964b5c8, v73, v89 op_sel_hi:[1,0,1] neg_lo:[0,1,0] neg_hi:[0,1,0]
	v_sub_f16_e32 v78, v40, v15
	v_add_f16_e32 v79, v28, v36
	v_pk_mul_f16 v91, 0xb8d23722, v77 op_sel_hi:[1,0]
	v_add_f16_e32 v70, v70, v28
	v_pk_mul_f16 v98, 0xbbddb8d2, v74 op_sel_hi:[1,0]
	v_pk_fma_f16 v106, 0xbbf7b964, v75, v90 op_sel_hi:[1,0,1] neg_lo:[0,1,0] neg_hi:[0,1,0]
	v_pk_add_f16 v71, v1, v71 op_sel_hi:[0,1]
	v_pk_fma_f16 v107, 0xbbf7bb29, v73, v97 op_sel_hi:[1,0,1] neg_lo:[0,1,0] neg_hi:[0,1,0]
	v_add_f16_e32 v70, v70, v27
	v_sub_f16_e32 v80, v39, v16
	v_add_f16_e32 v81, v27, v35
	v_pk_mul_f16 v92, 0xbbdd2de8, v79 op_sel_hi:[1,0]
	v_pk_mul_f16 v99, 0xb461bbdd, v77 op_sel_hi:[1,0]
	v_add_f16_e32 v70, v70, v25
	v_pk_fma_f16 v108, 0xba62bb29, v78, v91 op_sel_hi:[1,0,1] neg_lo:[0,1,0] neg_hi:[0,1,0]
	v_pk_fma_f16 v109, 0xb1e1ba62, v75, v98 op_sel_hi:[1,0,1] neg_lo:[0,1,0] neg_hi:[0,1,0]
	v_pk_add_f16 v71, v71, v106
	v_pk_add_f16 v106, v1, v107 op_sel_hi:[0,1]
	v_add_f16_e32 v70, v70, v23
	v_sub_f16_e32 v82, v38, v17
	v_add_f16_e32 v83, v25, v33
	v_pk_mul_f16 v93, 0xbacdb461, v81 op_sel_hi:[1,0]
	v_pk_mul_f16 v100, 0x3b76b461, v79 op_sel_hi:[1,0]
	v_add_f16_e32 v70, v70, v24
	v_pk_fma_f16 v107, 0xb1e1bbf7, v80, v92 op_sel_hi:[1,0,1] neg_lo:[0,1,0] neg_hi:[0,1,0]
	v_pk_fma_f16 v110, 0x3bb231e1, v78, v99 op_sel_hi:[1,0,1] neg_lo:[0,1,0] neg_hi:[0,1,0]
	v_pk_add_f16 v71, v71, v108
	v_pk_add_f16 v106, v106, v109
	v_add_f16_e32 v70, v70, v26
	v_sub_f16_e32 v84, v34, v18
	v_add_f16_e32 v85, v23, v29
	v_pk_mul_f16 v94, 0xb461b8d2, v83 op_sel_hi:[1,0]
	v_pk_mul_f16 v101, 0x372239e9, v81 op_sel_hi:[1,0]
	v_add_f16_e32 v70, v70, v29
	v_pk_fma_f16 v108, 0x3836bbb2, v82, v93 op_sel_hi:[1,0,1] neg_lo:[0,1,0] neg_hi:[0,1,0]
	v_pk_fma_f16 v109, 0x35c83bb2, v80, v100 op_sel_hi:[1,0,1] neg_lo:[0,1,0] neg_hi:[0,1,0]
	v_pk_add_f16 v71, v71, v107
	v_pk_add_f16 v106, v106, v110
	v_add_f16_e32 v70, v70, v33
	v_sub_f16_e32 v86, v22, v19
	v_pk_mul_f16 v95, 0x3722bacd, v85 op_sel_hi:[1,0]
	v_pk_mul_f16 v102, 0xbacd3b76, v83 op_sel_hi:[1,0]
	;; [unrolled: 1-line block ×3, first 2 shown]
	v_add_f16_e32 v70, v35, v70
	v_pk_fma_f16 v107, 0x3bb2ba62, v84, v94 op_sel_hi:[1,0,1] neg_lo:[0,1,0] neg_hi:[0,1,0]
	v_pk_fma_f16 v110, 0xbb293964, v82, v101 op_sel_hi:[1,0,1] neg_lo:[0,1,0] neg_hi:[0,1,0]
	v_pk_add_f16 v71, v71, v108
	v_pk_add_f16 v106, v106, v109
	v_add_f16_e32 v70, v36, v70
	v_pk_fma_f16 v108, 0x3b29b836, v86, v95 op_sel_hi:[1,0,1] neg_lo:[0,1,0] neg_hi:[0,1,0]
	v_pk_fma_f16 v109, 0xb836b5c8, v84, v102 op_sel_hi:[1,0,1] neg_lo:[0,1,0] neg_hi:[0,1,0]
	v_pk_add_f16 v71, v71, v107
	v_pk_add_f16 v106, v106, v110
	v_add_f16_e32 v70, v37, v70
	v_pk_mul_f16 v107, 0xb461bacd, v74 op_sel_hi:[1,0]
	v_pk_fma_f16 v110, 0xba62bbb2, v73, v105 op_sel_hi:[1,0,1] neg_lo:[0,1,0] neg_hi:[0,1,0]
	v_add_f16_e32 v87, v24, v26
	v_pk_mul_f16 v103, 0xb8d22de8, v85 op_sel_hi:[1,0]
	v_add_f16_e32 v70, v41, v70
	v_pk_add_f16 v71, v108, v71
	v_pk_mul_f16 v111, 0x3b7639e9, v77 op_sel_hi:[1,0]
	v_sub_f16_e32 v88, v21, v20
	v_pk_mul_f16 v96, 0x3b76bbdd, v87 op_sel_hi:[1,0]
	v_add_f16_e32 v108, v42, v70
	v_pk_add_f16 v70, v106, v109
	v_pk_add_f16 v109, v1, v110 op_sel_hi:[0,1]
	v_pk_fma_f16 v110, 0x3bb23836, v75, v107 op_sel_hi:[1,0,1] neg_lo:[0,1,0] neg_hi:[0,1,0]
	v_pk_mul_f16 v104, 0x39e9bacd, v87 op_sel_hi:[1,0]
	v_pk_fma_f16 v106, 0x3a62bbf7, v86, v103 op_sel_hi:[1,0,1] neg_lo:[0,1,0] neg_hi:[0,1,0]
	v_pk_mul_f16 v114, 0xbacd3722, v79 op_sel_hi:[1,0]
	v_pk_fma_f16 v112, 0x35c8b1e1, v88, v96 op_sel_hi:[1,0,1] neg_lo:[0,1,0] neg_hi:[0,1,0]
	v_pk_add_f16 v109, v109, v110
	v_pk_fma_f16 v110, 0xb5c83964, v78, v111 op_sel_hi:[1,0,1] neg_lo:[0,1,0] neg_hi:[0,1,0]
	v_pk_add_f16 v106, v106, v70
	v_pk_fma_f16 v113, 0x3964b836, v88, v104 op_sel_hi:[1,0,1] neg_lo:[0,1,0] neg_hi:[0,1,0]
	v_pk_mul_f16 v72, 0xbbddbacd, v72 op_sel_hi:[1,0]
	v_pk_add_f16 v70, v112, v71
	v_pk_add_f16 v109, v109, v110
	v_pk_fma_f16 v110, 0xb836bb29, v80, v114 op_sel_hi:[1,0,1] neg_lo:[0,1,0] neg_hi:[0,1,0]
	v_pk_add_f16 v71, v113, v106
	v_pk_mul_f16 v106, 0x2de8bbdd, v81 op_sel_hi:[1,0]
	v_pk_mul_f16 v74, 0x3b763722, v74 op_sel_hi:[1,0]
	;; [unrolled: 1-line block ×3, first 2 shown]
	v_pk_add_f16 v109, v109, v110
	v_pk_fma_f16 v110, 0xb1e1b836, v73, v72 op_sel_hi:[1,0,1] neg_lo:[0,1,0] neg_hi:[0,1,0]
	v_pk_fma_f16 v72, 0xb1e1b836, v73, v72 op_sel_hi:[1,0,1]
	v_pk_fma_f16 v116, 0x3bf7b1e1, v82, v106 op_sel_hi:[1,0,1] neg_lo:[0,1,0] neg_hi:[0,1,0]
	v_pk_fma_f16 v117, 0x35c83b29, v75, v74 op_sel_hi:[1,0,1] neg_lo:[0,1,0] neg_hi:[0,1,0]
	v_pk_mul_f16 v112, 0x39e92de8, v83 op_sel_hi:[1,0]
	v_pk_add_f16 v110, v1, v110 op_sel_hi:[0,1]
	v_pk_add_f16 v72, v1, v72 op_sel_hi:[0,1]
	v_pk_fma_f16 v74, 0x35c83b29, v75, v74 op_sel_hi:[1,0,1]
	v_pk_add_f16 v109, v109, v116
	v_pk_mul_f16 v79, 0x39e9b8d2, v79 op_sel_hi:[1,0]
	v_pk_add_f16 v110, v110, v117
	v_pk_fma_f16 v116, 0xb836bbf7, v78, v77 op_sel_hi:[1,0,1] neg_lo:[0,1,0] neg_hi:[0,1,0]
	v_pk_add_f16 v72, v72, v74
	v_pk_fma_f16 v74, 0xb836bbf7, v78, v77 op_sel_hi:[1,0,1]
	v_pk_fma_f16 v77, 0xb9643bf7, v84, v112 op_sel_hi:[1,0,1] neg_lo:[0,1,0] neg_hi:[0,1,0]
	v_pk_mul_f16 v81, 0xb8d23b76, v81 op_sel_hi:[1,0]
	v_pk_add_f16 v110, v110, v116
	v_pk_fma_f16 v116, 0x39643a62, v80, v79 op_sel_hi:[1,0,1] neg_lo:[0,1,0] neg_hi:[0,1,0]
	v_pk_mul_f16 v113, 0xbbdd3b76, v85 op_sel_hi:[1,0]
	v_pk_add_f16 v72, v72, v74
	v_pk_fma_f16 v74, 0x39643a62, v80, v79 op_sel_hi:[1,0,1]
	v_pk_add_f16 v77, v109, v77
	v_pk_mul_f16 v79, 0x3722bbdd, v83 op_sel_hi:[1,0]
	v_pk_add_f16 v83, v110, v116
	v_pk_fma_f16 v109, 0xba62b5c8, v82, v81 op_sel_hi:[1,0,1] neg_lo:[0,1,0] neg_hi:[0,1,0]
	v_pk_mul_f16 v115, 0x3722b8d2, v87 op_sel_hi:[1,0]
	v_pk_add_f16 v72, v72, v74
	v_pk_fma_f16 v74, 0xba62b5c8, v82, v81 op_sel_hi:[1,0,1]
	v_pk_fma_f16 v81, 0xb1e1b5c8, v86, v113 op_sel_hi:[1,0,1] neg_lo:[0,1,0] neg_hi:[0,1,0]
	v_pk_mul_f16 v85, 0xb46139e9, v85 op_sel_hi:[1,0]
	v_pk_add_f16 v83, v83, v109
	v_pk_fma_f16 v109, 0x3b29b1e1, v84, v79 op_sel_hi:[1,0,1] neg_lo:[0,1,0] neg_hi:[0,1,0]
	v_pk_add_f16 v72, v72, v74
	v_pk_fma_f16 v74, 0x3b29b1e1, v84, v79 op_sel_hi:[1,0,1]
	v_pk_add_f16 v77, v81, v77
	v_pk_fma_f16 v79, 0x3b29ba62, v88, v115 op_sel_hi:[1,0,1] neg_lo:[0,1,0] neg_hi:[0,1,0]
	v_pk_add_f16 v81, v83, v109
	v_pk_fma_f16 v83, 0xbbb23964, v86, v85 op_sel_hi:[1,0,1] neg_lo:[0,1,0] neg_hi:[0,1,0]
	v_pk_add_f16 v74, v72, v74
	v_pk_fma_f16 v85, 0xbbb23964, v86, v85 op_sel_hi:[1,0,1]
	v_pk_add_f16 v72, v79, v77
	v_pk_mul_f16 v77, 0x2de8b461, v87 op_sel_hi:[1,0]
	v_pk_add_f16 v79, v83, v81
	v_pk_fma_f16 v81, 0xba62bbb2, v73, v105 op_sel_hi:[1,0,1]
	v_pk_fma_f16 v83, 0xbbf7bb29, v73, v97 op_sel_hi:[1,0,1]
	;; [unrolled: 1-line block ×5, first 2 shown]
	v_pk_add_f16 v81, v1, v81 op_sel_hi:[0,1]
	v_pk_add_f16 v83, v1, v83 op_sel_hi:[0,1]
	;; [unrolled: 1-line block ×3, first 2 shown]
	v_pk_fma_f16 v73, 0xbbf7b964, v75, v90 op_sel_hi:[1,0,1]
	v_pk_add_f16 v74, v85, v74
	v_pk_add_f16 v75, v81, v87
	v_pk_fma_f16 v81, 0xb5c83964, v78, v111 op_sel_hi:[1,0,1]
	v_pk_add_f16 v83, v83, v89
	v_pk_fma_f16 v87, 0x3bb231e1, v78, v99 op_sel_hi:[1,0,1]
	;; [unrolled: 2-line block ×15, first 2 shown]
	v_pk_fma_f16 v85, 0x3bf7bbb2, v88, v77 op_sel_hi:[1,0,1]
	v_pk_add_f16 v75, v78, v75
	v_pk_fma_f16 v78, 0x3b29ba62, v88, v115 op_sel_hi:[1,0,1]
	v_pk_add_f16 v80, v81, v80
	;; [unrolled: 2-line block ×3, first 2 shown]
	v_pk_fma_f16 v73, 0x35c8b1e1, v88, v96 op_sel_hi:[1,0,1]
	v_pk_fma_f16 v77, 0x3bf7bbb2, v88, v77 op_sel_hi:[1,0,1] neg_lo:[0,1,0] neg_hi:[0,1,0]
	v_pk_add_f16 v74, v85, v74
	v_pk_add_f16 v75, v78, v75
	;; [unrolled: 1-line block ×5, first 2 shown]
	v_alignbit_b32 v77, v74, v74, 16
	v_alignbit_b32 v78, v75, v75, 16
	;; [unrolled: 1-line block ×4, first 2 shown]
	ds_write_b16 v76, v108 offset:1734
	ds_write_b128 v76, v[70:73] offset:1736
	ds_write_b128 v76, v[77:80] offset:1752
.LBB0_15:
	s_or_b32 exec_lo, exec_lo, s1
	v_add_f16_e32 v1, v4, v67
	v_sub_f16_e32 v45, v45, v58
	v_add_f16_e32 v67, v67, v5
	v_sub_f16_e32 v46, v46, v57
	v_sub_f16_e32 v52, v52, v59
	v_add_f16_e32 v1, v1, v68
	v_pk_mul_f16 v59, 0xb964b5c8, v45 op_sel_hi:[1,0]
	v_add_f16_e32 v58, v68, v6
	v_sub_f16_e32 v47, v47, v56
	v_sub_f16_e32 v51, v51, v60
	v_add_f16_e32 v1, v1, v66
	v_add_f16_e32 v77, v69, v11
	v_pk_mul_f16 v60, 0xbbf7b964, v46 op_sel_hi:[1,0]
	v_add_f16_e32 v57, v66, v7
	v_sub_f16_e32 v48, v48, v55
	v_add_f16_e32 v1, v1, v65
	v_add_f16_e32 v55, v64, v9
	v_pk_fma_f16 v74, 0x2de839e9, v58, v60 op_sel_hi:[1,0,1]
	v_add_f16_e32 v56, v65, v8
	v_sub_f16_e32 v49, v49, v54
	v_add_f16_e32 v1, v1, v64
	v_pk_mul_f16 v64, 0xba62bb29, v47 op_sel_hi:[1,0]
	v_sub_f16_e32 v50, v50, v53
	v_add_f16_e32 v53, v63, v61
	v_pk_mul_f16 v65, 0xb1e1bbf7, v48 op_sel_hi:[1,0]
	v_add_f16_e32 v1, v1, v62
	v_pk_fma_f16 v75, 0xb8d23722, v57, v64 op_sel_hi:[1,0,1]
	v_pk_fma_f16 v60, 0x2de839e9, v58, v60 op_sel_hi:[1,0,1] neg_lo:[0,0,1] neg_hi:[0,0,1]
	v_add_f16_e32 v54, v62, v10
	v_pk_mul_f16 v62, 0x3836bbb2, v49 op_sel_hi:[1,0]
	v_add_f16_e32 v1, v1, v61
	v_pk_mul_f16 v61, 0xbbf7bb29, v45 op_sel_hi:[1,0]
	v_pk_mul_f16 v71, 0xb1e1ba62, v46 op_sel_hi:[1,0]
	v_pk_fma_f16 v78, 0xbbdd2de8, v56, v65 op_sel_hi:[1,0,1]
	v_pk_mul_f16 v66, 0x3bb2ba62, v50 op_sel_hi:[1,0]
	v_add_f16_e32 v1, v1, v11
	v_pk_fma_f16 v11, 0x39e93b76, v67, v59 op_sel_hi:[1,0,1]
	v_pk_fma_f16 v59, 0x39e93b76, v67, v59 op_sel_hi:[1,0,1] neg_lo:[0,0,1] neg_hi:[0,0,1]
	v_pk_mul_f16 v72, 0x3bb231e1, v47 op_sel_hi:[1,0]
	v_pk_mul_f16 v68, 0x3b29b836, v51 op_sel_hi:[1,0]
	v_add_f16_e32 v1, v1, v69
	v_pk_add_f16 v11, v11, v4 op_sel_hi:[1,0]
	v_pk_add_f16 v59, v59, v4 op_sel_hi:[1,0]
	v_pk_fma_f16 v69, 0xbacdb461, v55, v62 op_sel_hi:[1,0,1]
	v_pk_fma_f16 v79, 0xb461b8d2, v54, v66 op_sel_hi:[1,0,1]
	v_add_f16_e32 v1, v63, v1
	v_pk_add_f16 v11, v74, v11
	v_pk_fma_f16 v63, 0xb8d23722, v57, v64 op_sel_hi:[1,0,1] neg_lo:[0,0,1] neg_hi:[0,0,1]
	v_pk_fma_f16 v64, 0x2de83722, v67, v61 op_sel_hi:[1,0,1]
	v_pk_add_f16 v59, v60, v59
	v_add_f16_e32 v1, v1, v10
	v_pk_add_f16 v11, v75, v11
	v_pk_fma_f16 v10, 0xbbdd2de8, v56, v65 op_sel_hi:[1,0,1] neg_lo:[0,0,1] neg_hi:[0,0,1]
	v_pk_add_f16 v60, v64, v4 op_sel_hi:[1,0]
	v_pk_add_f16 v59, v63, v59
	v_add_f16_e32 v1, v1, v9
	v_pk_add_f16 v11, v78, v11
	v_pk_fma_f16 v62, 0xbacdb461, v55, v62 op_sel_hi:[1,0,1] neg_lo:[0,0,1] neg_hi:[0,0,1]
	v_pk_mul_f16 v70, 0x35c8b1e1, v52 op_sel_hi:[1,0]
	v_pk_add_f16 v10, v10, v59
	v_add_f16_e32 v1, v1, v8
	v_pk_fma_f16 v8, 0xbbddb8d2, v58, v71 op_sel_hi:[1,0,1]
	v_pk_add_f16 v11, v69, v11
	v_pk_mul_f16 v73, 0x35c83bb2, v48 op_sel_hi:[1,0]
	v_pk_fma_f16 v80, 0x3722bacd, v53, v68 op_sel_hi:[1,0,1]
	v_add_f16_e32 v1, v1, v7
	v_pk_fma_f16 v7, 0xb461bbdd, v57, v72 op_sel_hi:[1,0,1]
	v_pk_add_f16 v8, v8, v60
	v_pk_fma_f16 v9, 0xb461b8d2, v54, v66 op_sel_hi:[1,0,1] neg_lo:[0,0,1] neg_hi:[0,0,1]
	v_pk_add_f16 v11, v79, v11
	v_add_f16_e32 v1, v1, v6
	v_pk_fma_f16 v6, 0x3b76b461, v56, v73 op_sel_hi:[1,0,1]
	v_pk_add_f16 v7, v7, v8
	v_pk_add_f16 v8, v62, v10
	;; [unrolled: 1-line block ×3, first 2 shown]
	v_add_f16_e32 v81, v1, v5
	v_pk_mul_f16 v1, 0xbb293964, v49 op_sel_hi:[1,0]
	v_pk_fma_f16 v5, 0x3b76bbdd, v77, v70 op_sel_hi:[1,0,1]
	v_pk_add_f16 v9, v9, v8
	v_pk_fma_f16 v11, 0x3722bacd, v53, v68 op_sel_hi:[1,0,1] neg_lo:[0,0,1] neg_hi:[0,0,1]
	v_pk_add_f16 v6, v6, v7
	v_pk_fma_f16 v7, 0x372239e9, v55, v1 op_sel_hi:[1,0,1]
	v_pk_mul_f16 v59, 0xb836b5c8, v50 op_sel_hi:[1,0]
	v_pk_add_f16 v8, v10, v5
	v_pk_add_f16 v5, v9, v11
	v_pk_fma_f16 v9, 0x3b76bbdd, v77, v70 op_sel_hi:[1,0,1] neg_lo:[0,0,1] neg_hi:[0,0,1]
	v_pk_add_f16 v6, v7, v6
	v_pk_fma_f16 v7, 0xbacd3b76, v54, v59 op_sel_hi:[1,0,1]
	v_pk_mul_f16 v10, 0x3a62bbf7, v51 op_sel_hi:[1,0]
	v_pk_mul_f16 v11, 0xba62bbb2, v45 op_sel_hi:[1,0]
	v_pk_add_f16 v80, v5, v9
	v_pk_fma_f16 v5, 0x2de83722, v67, v61 op_sel_hi:[1,0,1] neg_lo:[0,0,1] neg_hi:[0,0,1]
	v_pk_add_f16 v6, v7, v6
	v_pk_fma_f16 v7, 0xb8d22de8, v53, v10 op_sel_hi:[1,0,1]
	v_pk_fma_f16 v9, 0xb8d2b461, v67, v11 op_sel_hi:[1,0,1]
	v_pk_mul_f16 v60, 0x3bb23836, v46 op_sel_hi:[1,0]
	v_pk_add_f16 v5, v5, v4 op_sel_hi:[1,0]
	v_pk_fma_f16 v61, 0xbbddb8d2, v58, v71 op_sel_hi:[1,0,1] neg_lo:[0,0,1] neg_hi:[0,0,1]
	v_pk_add_f16 v6, v6, v7
	v_pk_add_f16 v7, v9, v4 op_sel_hi:[1,0]
	v_pk_fma_f16 v9, 0xb461bacd, v58, v60 op_sel_hi:[1,0,1]
	v_pk_mul_f16 v62, 0xb5c83964, v47 op_sel_hi:[1,0]
	v_pk_add_f16 v5, v61, v5
	v_pk_fma_f16 v61, 0xb461bbdd, v57, v72 op_sel_hi:[1,0,1] neg_lo:[0,0,1] neg_hi:[0,0,1]
	v_pk_mul_f16 v63, 0x3964b836, v52 op_sel_hi:[1,0]
	v_pk_add_f16 v7, v9, v7
	v_pk_fma_f16 v9, 0x3b7639e9, v57, v62 op_sel_hi:[1,0,1]
	v_pk_mul_f16 v64, 0xb836bb29, v48 op_sel_hi:[1,0]
	v_pk_add_f16 v5, v61, v5
	v_pk_fma_f16 v61, 0x3b76b461, v56, v73 op_sel_hi:[1,0,1] neg_lo:[0,0,1] neg_hi:[0,0,1]
	v_pk_fma_f16 v65, 0x39e9bacd, v77, v63 op_sel_hi:[1,0,1]
	v_pk_add_f16 v7, v9, v7
	v_pk_fma_f16 v66, 0xbacd3722, v56, v64 op_sel_hi:[1,0,1]
	v_pk_mul_f16 v68, 0x3bf7b1e1, v49 op_sel_hi:[1,0]
	v_pk_add_f16 v5, v61, v5
	v_pk_fma_f16 v1, 0x372239e9, v55, v1 op_sel_hi:[1,0,1] neg_lo:[0,0,1] neg_hi:[0,0,1]
	v_pk_add_f16 v9, v6, v65
	v_pk_add_f16 v6, v66, v7
	v_pk_fma_f16 v7, 0x2de8bbdd, v55, v68 op_sel_hi:[1,0,1]
	v_pk_mul_f16 v61, 0xb9643bf7, v50 op_sel_hi:[1,0]
	v_pk_add_f16 v1, v1, v5
	v_pk_fma_f16 v5, 0xb8d2b461, v67, v11 op_sel_hi:[1,0,1] neg_lo:[0,0,1] neg_hi:[0,0,1]
	v_pk_fma_f16 v11, 0xbacd3b76, v54, v59 op_sel_hi:[1,0,1] neg_lo:[0,0,1] neg_hi:[0,0,1]
	v_pk_add_f16 v6, v7, v6
	v_pk_fma_f16 v7, 0x39e92de8, v54, v61 op_sel_hi:[1,0,1]
	v_pk_mul_f16 v59, 0xb1e1b5c8, v51 op_sel_hi:[1,0]
	v_pk_add_f16 v5, v5, v4 op_sel_hi:[1,0]
	v_pk_fma_f16 v60, 0xb461bacd, v58, v60 op_sel_hi:[1,0,1] neg_lo:[0,0,1] neg_hi:[0,0,1]
	v_pk_add_f16 v1, v11, v1
	v_pk_fma_f16 v10, 0xb8d22de8, v53, v10 op_sel_hi:[1,0,1] neg_lo:[0,0,1] neg_hi:[0,0,1]
	v_pk_add_f16 v6, v7, v6
	v_pk_fma_f16 v7, 0xbbdd3b76, v53, v59 op_sel_hi:[1,0,1]
	v_pk_add_f16 v5, v60, v5
	v_pk_fma_f16 v11, 0x3b7639e9, v57, v62 op_sel_hi:[1,0,1] neg_lo:[0,0,1] neg_hi:[0,0,1]
	v_pk_add_f16 v10, v1, v10
	v_pk_mul_f16 v1, 0xb1e1b836, v45 op_sel_hi:[1,0]
	v_pk_add_f16 v6, v6, v7
	v_pk_fma_f16 v7, 0xbacd3722, v56, v64 op_sel_hi:[1,0,1] neg_lo:[0,0,1] neg_hi:[0,0,1]
	v_pk_add_f16 v5, v11, v5
	v_pk_mul_f16 v45, 0x35c83b29, v46 op_sel_hi:[1,0]
	v_pk_fma_f16 v11, 0xbbddbacd, v67, v1 op_sel_hi:[1,0,1]
	v_pk_fma_f16 v1, 0xbbddbacd, v67, v1 op_sel_hi:[1,0,1] neg_lo:[0,0,1] neg_hi:[0,0,1]
	v_pk_mul_f16 v47, 0xb836bbf7, v47 op_sel_hi:[1,0]
	v_pk_add_f16 v5, v7, v5
	v_pk_mul_f16 v48, 0x39643a62, v48 op_sel_hi:[1,0]
	v_pk_add_f16 v7, v11, v4 op_sel_hi:[1,0]
	v_pk_fma_f16 v11, 0x3b763722, v58, v45 op_sel_hi:[1,0,1]
	v_pk_add_f16 v1, v1, v4 op_sel_hi:[1,0]
	v_pk_fma_f16 v4, 0x3b763722, v58, v45 op_sel_hi:[1,0,1] neg_lo:[0,0,1] neg_hi:[0,0,1]
	v_pk_fma_f16 v45, 0x2de8bbdd, v55, v68 op_sel_hi:[1,0,1] neg_lo:[0,0,1] neg_hi:[0,0,1]
	v_pk_mul_f16 v46, 0x3b29ba62, v52 op_sel_hi:[1,0]
	v_pk_add_f16 v7, v11, v7
	v_pk_fma_f16 v11, 0xbacd2de8, v57, v47 op_sel_hi:[1,0,1]
	v_pk_add_f16 v1, v4, v1
	v_pk_fma_f16 v4, 0xbacd2de8, v57, v47 op_sel_hi:[1,0,1] neg_lo:[0,0,1] neg_hi:[0,0,1]
	v_pk_mul_f16 v47, 0xba62b5c8, v49 op_sel_hi:[1,0]
	v_pk_add_f16 v5, v45, v5
	v_pk_add_f16 v7, v11, v7
	v_pk_fma_f16 v11, 0x39e9b8d2, v56, v48 op_sel_hi:[1,0,1]
	v_pk_add_f16 v1, v4, v1
	v_pk_fma_f16 v4, 0x39e9b8d2, v56, v48 op_sel_hi:[1,0,1] neg_lo:[0,0,1] neg_hi:[0,0,1]
	v_pk_fma_f16 v45, 0x39e92de8, v54, v61 op_sel_hi:[1,0,1] neg_lo:[0,0,1] neg_hi:[0,0,1]
	;; [unrolled: 1-line block ×3, first 2 shown]
	v_pk_add_f16 v7, v11, v7
	v_pk_mul_f16 v11, 0x3b29b1e1, v50 op_sel_hi:[1,0]
	v_pk_add_f16 v1, v4, v1
	v_pk_fma_f16 v4, 0xb8d23b76, v55, v47 op_sel_hi:[1,0,1] neg_lo:[0,0,1] neg_hi:[0,0,1]
	v_pk_add_f16 v5, v45, v5
	v_pk_fma_f16 v45, 0xbbdd3b76, v53, v59 op_sel_hi:[1,0,1] neg_lo:[0,0,1] neg_hi:[0,0,1]
	v_pk_fma_f16 v47, 0xb8d23b76, v55, v47 op_sel_hi:[1,0,1]
	v_pk_fma_f16 v79, 0x3722b8d2, v77, v46 op_sel_hi:[1,0,1]
	v_pk_add_f16 v1, v4, v1
	v_pk_fma_f16 v4, 0x3722bbdd, v54, v11 op_sel_hi:[1,0,1] neg_lo:[0,0,1] neg_hi:[0,0,1]
	v_pk_add_f16 v82, v5, v45
	v_pk_add_f16 v5, v47, v7
	v_pk_mul_f16 v7, 0xbbb23964, v51 op_sel_hi:[1,0]
	v_pk_fma_f16 v11, 0x3722bbdd, v54, v11 op_sel_hi:[1,0,1]
	v_pk_add_f16 v4, v4, v1
	v_lshlrev_b32_e32 v1, 5, v0
	v_pk_fma_f16 v83, 0x3722b8d2, v77, v46 op_sel_hi:[1,0,1] neg_lo:[0,0,1] neg_hi:[0,0,1]
	v_pk_fma_f16 v45, 0xb46139e9, v53, v7 op_sel_hi:[1,0,1] neg_lo:[0,0,1] neg_hi:[0,0,1]
	v_pk_add_f16 v11, v11, v5
	v_pk_fma_f16 v7, 0xb46139e9, v53, v7 op_sel_hi:[1,0,1]
	v_sub_nc_u32_e32 v1, v76, v1
	v_pk_mul_f16 v84, 0x3bf7bbb2, v52 op_sel_hi:[1,0]
	v_pk_add_f16 v85, v4, v45
	s_waitcnt lgkmcnt(0)
	s_barrier
	buffer_gl0_inv
	ds_read_u16 v66, v1 offset:2346
	ds_read_u16 v67, v1 offset:1224
	;; [unrolled: 1-line block ×5, first 2 shown]
	ds_read_u16 v53, v1
	ds_read_u16 v52, v1 offset:102
	ds_read_u16 v51, v1 offset:204
	;; [unrolled: 1-line block ×27, first 2 shown]
	v_pk_fma_f16 v86, 0x2de8b461, v77, v84 op_sel_hi:[1,0,1] neg_lo:[0,0,1] neg_hi:[0,0,1]
	v_pk_add_f16 v7, v11, v7
	v_pk_fma_f16 v11, 0x2de8b461, v77, v84 op_sel_hi:[1,0,1]
	v_pk_add_f16 v84, v10, v78
	v_pk_add_f16 v10, v6, v79
	;; [unrolled: 1-line block ×5, first 2 shown]
	v_add_nc_u32_e32 v7, 51, v0
	v_alignbit_b32 v79, v84, v84, 16
	v_alignbit_b32 v77, v6, v6, 16
	;; [unrolled: 1-line block ×4, first 2 shown]
	s_waitcnt lgkmcnt(0)
	s_barrier
	buffer_gl0_inv
	ds_write_b16 v76, v81
	ds_write_b128 v76, v[8:11] offset:2
	ds_write_b128 v76, v[77:80] offset:18
	s_and_saveexec_b32 s1, s0
	s_cbranch_execz .LBB0_17
; %bb.16:
	v_add_f16_e32 v6, v12, v44
	v_sub_f16_e32 v11, v32, v42
	v_add_f16_e32 v10, v44, v13
	v_sub_f16_e32 v31, v31, v41
	v_add_f16_e32 v32, v43, v14
	v_add_f16_e32 v6, v6, v43
	v_pk_mul_f16 v8, 0xb964b5c8, v11 op_sel_hi:[1,0]
	v_sub_f16_e32 v30, v30, v37
	v_sub_f16_e32 v23, v23, v29
	v_add_f16_e32 v29, v21, v20
	v_add_f16_e32 v6, v6, v40
	v_pk_mul_f16 v9, 0xbbf7b964, v31 op_sel_hi:[1,0]
	v_add_f16_e32 v41, v40, v15
	v_sub_f16_e32 v28, v28, v36
	v_sub_f16_e32 v24, v24, v26
	v_add_f16_e32 v6, v6, v39
	v_pk_mul_f16 v26, 0xba62bb29, v30 op_sel_hi:[1,0]
	v_pk_fma_f16 v77, 0x2de839e9, v32, v9 op_sel_hi:[1,0,1]
	v_pk_fma_f16 v9, 0x2de839e9, v32, v9 op_sel_hi:[1,0,1] neg_lo:[0,0,1] neg_hi:[0,0,1]
	v_add_f16_e32 v37, v39, v16
	v_add_f16_e32 v6, v6, v38
	;; [unrolled: 1-line block ×3, first 2 shown]
	v_sub_f16_e32 v27, v27, v35
	v_sub_f16_e32 v25, v25, v33
	v_add_f16_e32 v33, v22, v19
	v_add_f16_e32 v6, v6, v34
	v_pk_mul_f16 v38, 0xb1e1bbf7, v28 op_sel_hi:[1,0]
	v_pk_fma_f16 v78, 0xb8d23722, v41, v26 op_sel_hi:[1,0,1]
	v_add_f16_e32 v35, v34, v18
	v_pk_mul_f16 v34, 0x3836bbb2, v27 op_sel_hi:[1,0]
	v_add_f16_e32 v6, v6, v22
	v_pk_mul_f16 v22, 0xbbf7bb29, v11 op_sel_hi:[1,0]
	v_pk_mul_f16 v43, 0xb1e1ba62, v31 op_sel_hi:[1,0]
	v_pk_fma_f16 v79, 0xbbdd2de8, v37, v38 op_sel_hi:[1,0,1]
	v_pk_mul_f16 v39, 0x3bb2ba62, v25 op_sel_hi:[1,0]
	v_add_f16_e32 v6, v6, v21
	v_pk_fma_f16 v21, 0x39e93b76, v10, v8 op_sel_hi:[1,0,1]
	v_pk_fma_f16 v8, 0x39e93b76, v10, v8 op_sel_hi:[1,0,1] neg_lo:[0,0,1] neg_hi:[0,0,1]
	v_pk_mul_f16 v44, 0x3bb231e1, v30 op_sel_hi:[1,0]
	v_pk_mul_f16 v40, 0x3b29b836, v23 op_sel_hi:[1,0]
	v_add_f16_e32 v6, v6, v20
	v_pk_add_f16 v21, v12, v21 op_sel_hi:[0,1]
	v_pk_add_f16 v8, v12, v8 op_sel_hi:[0,1]
	v_pk_fma_f16 v20, 0xbacdb461, v36, v34 op_sel_hi:[1,0,1]
	v_pk_mul_f16 v76, 0x35c83bb2, v28 op_sel_hi:[1,0]
	v_add_f16_e32 v6, v6, v19
	v_pk_fma_f16 v19, 0xb8d23722, v41, v26 op_sel_hi:[1,0,1] neg_lo:[0,0,1] neg_hi:[0,0,1]
	v_pk_add_f16 v21, v21, v77
	v_pk_add_f16 v8, v8, v9
	v_pk_fma_f16 v26, 0xbacdb461, v36, v34 op_sel_hi:[1,0,1] neg_lo:[0,0,1] neg_hi:[0,0,1]
	v_add_f16_e32 v6, v6, v18
	v_pk_fma_f16 v18, 0xbbdd2de8, v37, v38 op_sel_hi:[1,0,1] neg_lo:[0,0,1] neg_hi:[0,0,1]
	v_pk_add_f16 v21, v21, v78
	v_pk_add_f16 v8, v8, v19
	v_pk_fma_f16 v80, 0xb461b8d2, v35, v39 op_sel_hi:[1,0,1]
	v_add_f16_e32 v6, v17, v6
	v_pk_fma_f16 v17, 0x2de83722, v10, v22 op_sel_hi:[1,0,1]
	v_pk_add_f16 v19, v21, v79
	v_pk_add_f16 v8, v8, v18
	v_pk_fma_f16 v9, 0xb461b8d2, v35, v39 op_sel_hi:[1,0,1] neg_lo:[0,0,1] neg_hi:[0,0,1]
	v_add_f16_e32 v6, v16, v6
	v_pk_fma_f16 v16, 0xbbddb8d2, v32, v43 op_sel_hi:[1,0,1]
	v_pk_add_f16 v17, v12, v17 op_sel_hi:[0,1]
	v_pk_add_f16 v8, v8, v26
	v_pk_mul_f16 v42, 0x35c8b1e1, v24 op_sel_hi:[1,0]
	v_add_f16_e32 v6, v15, v6
	v_pk_fma_f16 v15, 0xb461bbdd, v41, v44 op_sel_hi:[1,0,1]
	v_pk_add_f16 v16, v17, v16
	v_pk_add_f16 v17, v19, v20
	v_pk_fma_f16 v81, 0x3722bacd, v33, v40 op_sel_hi:[1,0,1]
	v_add_f16_e32 v6, v14, v6
	v_pk_fma_f16 v14, 0x3722bacd, v33, v40 op_sel_hi:[1,0,1] neg_lo:[0,0,1] neg_hi:[0,0,1]
	v_pk_add_f16 v15, v16, v15
	v_pk_add_f16 v16, v17, v80
	;; [unrolled: 1-line block ×3, first 2 shown]
	v_add_f16_e32 v6, v13, v6
	v_pk_fma_f16 v9, 0x3b76b461, v37, v76 op_sel_hi:[1,0,1]
	v_pk_mul_f16 v13, 0xbb293964, v27 op_sel_hi:[1,0]
	v_pk_add_f16 v16, v81, v16
	v_pk_fma_f16 v17, 0x3b76bbdd, v29, v42 op_sel_hi:[1,0,1]
	v_pk_add_f16 v14, v14, v8
	v_pk_add_f16 v9, v15, v9
	v_pk_fma_f16 v15, 0x372239e9, v36, v13 op_sel_hi:[1,0,1]
	v_pk_mul_f16 v18, 0xb836b5c8, v25 op_sel_hi:[1,0]
	v_pk_fma_f16 v19, 0x3b76bbdd, v29, v42 op_sel_hi:[1,0,1] neg_lo:[0,0,1] neg_hi:[0,0,1]
	v_pk_add_f16 v8, v17, v16
	v_pk_fma_f16 v16, 0x2de83722, v10, v22 op_sel_hi:[1,0,1] neg_lo:[0,0,1] neg_hi:[0,0,1]
	v_pk_add_f16 v9, v9, v15
	v_pk_fma_f16 v15, 0xbacd3b76, v35, v18 op_sel_hi:[1,0,1]
	v_pk_add_f16 v17, v19, v14
	v_pk_mul_f16 v14, 0xba62bbb2, v11 op_sel_hi:[1,0]
	v_pk_add_f16 v16, v12, v16 op_sel_hi:[0,1]
	v_pk_fma_f16 v19, 0xbbddb8d2, v32, v43 op_sel_hi:[1,0,1] neg_lo:[0,0,1] neg_hi:[0,0,1]
	v_pk_add_f16 v9, v9, v15
	v_pk_mul_f16 v15, 0x3a62bbf7, v23 op_sel_hi:[1,0]
	v_pk_fma_f16 v20, 0xb8d2b461, v10, v14 op_sel_hi:[1,0,1]
	v_pk_mul_f16 v21, 0x3bb23836, v31 op_sel_hi:[1,0]
	v_pk_add_f16 v16, v16, v19
	v_pk_fma_f16 v19, 0xb461bbdd, v41, v44 op_sel_hi:[1,0,1] neg_lo:[0,0,1] neg_hi:[0,0,1]
	v_pk_fma_f16 v22, 0xb8d22de8, v33, v15 op_sel_hi:[1,0,1]
	v_pk_add_f16 v20, v12, v20 op_sel_hi:[0,1]
	v_pk_fma_f16 v26, 0xb461bacd, v32, v21 op_sel_hi:[1,0,1]
	v_pk_mul_f16 v34, 0xb5c83964, v30 op_sel_hi:[1,0]
	v_pk_add_f16 v16, v16, v19
	v_pk_fma_f16 v19, 0x3b76b461, v37, v76 op_sel_hi:[1,0,1] neg_lo:[0,0,1] neg_hi:[0,0,1]
	v_pk_add_f16 v9, v22, v9
	v_pk_add_f16 v20, v20, v26
	v_pk_fma_f16 v22, 0x3b7639e9, v41, v34 op_sel_hi:[1,0,1]
	v_pk_mul_f16 v26, 0xb836bb29, v28 op_sel_hi:[1,0]
	v_pk_add_f16 v16, v16, v19
	v_pk_fma_f16 v13, 0x372239e9, v36, v13 op_sel_hi:[1,0,1] neg_lo:[0,0,1] neg_hi:[0,0,1]
	v_pk_mul_f16 v19, 0x3964b836, v24 op_sel_hi:[1,0]
	v_pk_add_f16 v20, v20, v22
	v_pk_fma_f16 v22, 0xbacd3722, v37, v26 op_sel_hi:[1,0,1]
	v_pk_mul_f16 v38, 0x3bf7b1e1, v27 op_sel_hi:[1,0]
	v_pk_fma_f16 v14, 0xb8d2b461, v10, v14 op_sel_hi:[1,0,1] neg_lo:[0,0,1] neg_hi:[0,0,1]
	v_pk_add_f16 v13, v16, v13
	v_pk_fma_f16 v16, 0xbacd3b76, v35, v18 op_sel_hi:[1,0,1] neg_lo:[0,0,1] neg_hi:[0,0,1]
	v_pk_fma_f16 v18, 0x39e9bacd, v29, v19 op_sel_hi:[1,0,1]
	v_pk_add_f16 v20, v20, v22
	v_pk_fma_f16 v22, 0x2de8bbdd, v36, v38 op_sel_hi:[1,0,1]
	v_pk_mul_f16 v39, 0xb9643bf7, v25 op_sel_hi:[1,0]
	v_pk_add_f16 v14, v12, v14 op_sel_hi:[0,1]
	v_pk_fma_f16 v21, 0xb461bacd, v32, v21 op_sel_hi:[1,0,1] neg_lo:[0,0,1] neg_hi:[0,0,1]
	v_pk_add_f16 v13, v13, v16
	v_pk_fma_f16 v15, 0xb8d22de8, v33, v15 op_sel_hi:[1,0,1] neg_lo:[0,0,1] neg_hi:[0,0,1]
	v_pk_add_f16 v16, v20, v22
	v_pk_fma_f16 v20, 0x39e92de8, v35, v39 op_sel_hi:[1,0,1]
	v_pk_add_f16 v9, v18, v9
	v_pk_add_f16 v14, v14, v21
	v_pk_fma_f16 v18, 0x3b7639e9, v41, v34 op_sel_hi:[1,0,1] neg_lo:[0,0,1] neg_hi:[0,0,1]
	v_pk_mul_f16 v11, 0xb1e1b836, v11 op_sel_hi:[1,0]
	v_pk_add_f16 v13, v15, v13
	v_pk_add_f16 v15, v16, v20
	v_pk_mul_f16 v21, 0x35c83b29, v31 op_sel_hi:[1,0]
	v_pk_add_f16 v14, v14, v18
	v_pk_fma_f16 v18, 0xbacd3722, v37, v26 op_sel_hi:[1,0,1] neg_lo:[0,0,1] neg_hi:[0,0,1]
	v_pk_fma_f16 v20, 0xbbddbacd, v10, v11 op_sel_hi:[1,0,1] neg_lo:[0,0,1] neg_hi:[0,0,1]
	v_pk_fma_f16 v10, 0xbbddbacd, v10, v11 op_sel_hi:[1,0,1]
	v_pk_mul_f16 v28, 0x39643a62, v28 op_sel_hi:[1,0]
	v_pk_mul_f16 v22, 0xb1e1b5c8, v23 op_sel_hi:[1,0]
	v_pk_add_f16 v11, v14, v18
	v_pk_add_f16 v14, v12, v20 op_sel_hi:[0,1]
	v_pk_fma_f16 v18, 0x3b763722, v32, v21 op_sel_hi:[1,0,1] neg_lo:[0,0,1] neg_hi:[0,0,1]
	v_pk_mul_f16 v20, 0xb836bbf7, v30 op_sel_hi:[1,0]
	v_pk_add_f16 v10, v12, v10 op_sel_hi:[0,1]
	v_pk_fma_f16 v12, 0x3b763722, v32, v21 op_sel_hi:[1,0,1]
	v_pk_fma_f16 v21, 0x2de8bbdd, v36, v38 op_sel_hi:[1,0,1] neg_lo:[0,0,1] neg_hi:[0,0,1]
	v_pk_add_f16 v14, v14, v18
	v_pk_fma_f16 v18, 0xbacd2de8, v41, v20 op_sel_hi:[1,0,1] neg_lo:[0,0,1] neg_hi:[0,0,1]
	v_pk_mul_f16 v25, 0x3b29b1e1, v25 op_sel_hi:[1,0]
	v_pk_add_f16 v10, v10, v12
	v_pk_fma_f16 v12, 0xbacd2de8, v41, v20 op_sel_hi:[1,0,1]
	v_pk_mul_f16 v20, 0xba62b5c8, v27 op_sel_hi:[1,0]
	v_pk_add_f16 v14, v14, v18
	v_pk_fma_f16 v18, 0x39e9b8d2, v37, v28 op_sel_hi:[1,0,1] neg_lo:[0,0,1] neg_hi:[0,0,1]
	v_pk_fma_f16 v16, 0xbbdd3b76, v33, v22 op_sel_hi:[1,0,1]
	v_pk_add_f16 v10, v10, v12
	v_pk_fma_f16 v12, 0x39e9b8d2, v37, v28 op_sel_hi:[1,0,1]
	v_pk_add_f16 v11, v11, v21
	v_pk_add_f16 v14, v14, v18
	v_pk_fma_f16 v18, 0xb8d23b76, v36, v20 op_sel_hi:[1,0,1] neg_lo:[0,0,1] neg_hi:[0,0,1]
	v_pk_fma_f16 v21, 0x39e92de8, v35, v39 op_sel_hi:[1,0,1] neg_lo:[0,0,1] neg_hi:[0,0,1]
	v_pk_add_f16 v10, v10, v12
	v_pk_fma_f16 v12, 0xb8d23b76, v36, v20 op_sel_hi:[1,0,1]
	v_pk_mul_f16 v20, 0xbbb23964, v23 op_sel_hi:[1,0]
	v_pk_add_f16 v14, v14, v18
	v_pk_fma_f16 v18, 0x3722bbdd, v35, v25 op_sel_hi:[1,0,1] neg_lo:[0,0,1] neg_hi:[0,0,1]
	v_pk_add_f16 v15, v16, v15
	v_pk_add_f16 v10, v10, v12
	v_pk_fma_f16 v12, 0x3722bbdd, v35, v25 op_sel_hi:[1,0,1]
	v_pk_mul_f16 v16, 0x3b29ba62, v24 op_sel_hi:[1,0]
	v_pk_add_f16 v11, v11, v21
	v_pk_fma_f16 v21, 0xbbdd3b76, v33, v22 op_sel_hi:[1,0,1] neg_lo:[0,0,1] neg_hi:[0,0,1]
	v_pk_add_f16 v14, v14, v18
	v_pk_fma_f16 v18, 0xb46139e9, v33, v20 op_sel_hi:[1,0,1] neg_lo:[0,0,1] neg_hi:[0,0,1]
	v_pk_mul_f16 v22, 0x3bf7bbb2, v24 op_sel_hi:[1,0]
	v_pk_add_f16 v10, v10, v12
	v_pk_fma_f16 v12, 0xb46139e9, v33, v20 op_sel_hi:[1,0,1]
	v_pk_fma_f16 v19, 0x39e9bacd, v29, v19 op_sel_hi:[1,0,1] neg_lo:[0,0,1] neg_hi:[0,0,1]
	v_pk_fma_f16 v26, 0x3722b8d2, v29, v16 op_sel_hi:[1,0,1]
	v_pk_add_f16 v11, v21, v11
	v_pk_add_f16 v14, v18, v14
	v_pk_fma_f16 v18, 0x2de8b461, v29, v22 op_sel_hi:[1,0,1] neg_lo:[0,0,1] neg_hi:[0,0,1]
	v_pk_fma_f16 v16, 0x3722b8d2, v29, v16 op_sel_hi:[1,0,1] neg_lo:[0,0,1] neg_hi:[0,0,1]
	v_pk_add_f16 v12, v12, v10
	v_pk_fma_f16 v20, 0x2de8b461, v29, v22 op_sel_hi:[1,0,1]
	v_pk_add_f16 v19, v19, v13
	v_pk_add_f16 v13, v18, v14
	;; [unrolled: 1-line block ×3, first 2 shown]
	v_mad_u32_u24 v16, v7, 34, 0
	v_pk_add_f16 v10, v26, v15
	v_pk_add_f16 v11, v20, v12
	v_alignbit_b32 v12, v13, v13, 16
	v_alignbit_b32 v13, v14, v14, 16
	;; [unrolled: 1-line block ×4, first 2 shown]
	ds_write_b16 v16, v6
	ds_write_b128 v16, v[8:11] offset:2
	ds_write_b128 v16, v[12:15] offset:18
.LBB0_17:
	s_or_b32 exec_lo, exec_lo, s1
	v_and_b32_e32 v6, 0xff, v0
	v_and_b32_e32 v8, 0xff, v7
	v_add_nc_u32_e32 v12, 0x198, v0
	v_mov_b32_e32 v18, 0xf0f1
	v_mov_b32_e32 v17, 3
	v_mul_lo_u16 v6, 0xf1, v6
	v_mul_lo_u16 v8, 0xf1, v8
	s_waitcnt lgkmcnt(0)
	v_mul_u32_u24_sdwa v10, v12, v18 dst_sel:DWORD dst_unused:UNUSED_PAD src0_sel:WORD_0 src1_sel:DWORD
	s_barrier
	v_lshrrev_b16 v44, 12, v6
	v_lshrrev_b16 v82, 12, v8
	buffer_gl0_inv
	v_lshrrev_b32_e32 v19, 20, v10
	v_add_nc_u32_e32 v9, 0x66, v0
	v_mul_lo_u16 v6, v44, 17
	v_mul_lo_u16 v8, v82, 17
	v_add_nc_u32_e32 v10, 0x99, v0
	v_mul_lo_u16 v14, v19, 17
	v_and_b32_e32 v16, 0xff, v9
	v_sub_nc_u16 v83, v0, v6
	v_add_nc_u32_e32 v6, 0x1cb, v0
	v_sub_nc_u16 v84, v7, v8
	v_sub_nc_u16 v85, v12, v14
	v_and_b32_e32 v22, 0xff, v10
	v_lshlrev_b32_sdwa v8, v17, v83 dst_sel:DWORD dst_unused:UNUSED_PAD src0_sel:DWORD src1_sel:BYTE_0
	v_mul_u32_u24_sdwa v13, v6, v18 dst_sel:DWORD dst_unused:UNUSED_PAD src0_sel:WORD_0 src1_sel:DWORD
	v_lshlrev_b32_sdwa v11, v17, v84 dst_sel:DWORD dst_unused:UNUSED_PAD src0_sel:DWORD src1_sel:BYTE_0
	v_lshlrev_b32_sdwa v23, v17, v85 dst_sel:DWORD dst_unused:UNUSED_PAD src0_sel:DWORD src1_sel:WORD_0
	v_mov_b32_e32 v114, 0x66
	global_load_dwordx2 v[28:29], v8, s[8:9]
	v_lshrrev_b32_e32 v20, 20, v13
	s_clause 0x1
	global_load_dwordx2 v[30:31], v11, s[8:9]
	global_load_dwordx2 v[32:33], v23, s[8:9]
	v_add_nc_u32_e32 v8, 0x1fe, v0
	v_add_nc_u32_e32 v11, 0xcc, v0
	v_mul_lo_u16 v14, v20, 17
	v_add_nc_u32_e32 v13, 0xff, v0
	v_mov_b32_e32 v115, 1
	v_mul_u32_u24_sdwa v15, v8, v18 dst_sel:DWORD dst_unused:UNUSED_PAD src0_sel:WORD_0 src1_sel:DWORD
	v_and_b32_e32 v23, 0xff, v11
	v_sub_nc_u16 v86, v6, v14
	v_mul_lo_u16 v14, 0xf1, v22
	v_mul_u32_u24_sdwa v44, v44, v114 dst_sel:DWORD dst_unused:UNUSED_PAD src0_sel:WORD_0 src1_sel:DWORD
	v_lshrrev_b32_e32 v21, 20, v15
	v_mul_lo_u16 v15, 0xf1, v16
	v_lshlrev_b32_sdwa v83, v115, v83 dst_sel:DWORD dst_unused:UNUSED_PAD src0_sel:DWORD src1_sel:BYTE_0
	v_lshrrev_b16 v25, 12, v14
	v_add_nc_u32_e32 v14, 0x132, v0
	v_mul_lo_u16 v22, v21, 17
	v_lshrrev_b16 v27, 12, v15
	v_lshlrev_b32_sdwa v15, v17, v86 dst_sel:DWORD dst_unused:UNUSED_PAD src0_sel:DWORD src1_sel:WORD_0
	v_lshlrev_b32_sdwa v84, v115, v84 dst_sel:DWORD dst_unused:UNUSED_PAD src0_sel:DWORD src1_sel:BYTE_0
	v_lshlrev_b32_sdwa v85, v115, v85 dst_sel:DWORD dst_unused:UNUSED_PAD src0_sel:DWORD src1_sel:WORD_0
	v_sub_nc_u16 v87, v8, v22
	v_mul_lo_u16 v22, v27, 17
	global_load_dwordx2 v[34:35], v15, s[8:9]
	v_mul_lo_u16 v15, 0xf1, v23
	v_lshlrev_b32_sdwa v86, v115, v86 dst_sel:DWORD dst_unused:UNUSED_PAD src0_sel:DWORD src1_sel:WORD_0
	v_lshlrev_b32_sdwa v23, v17, v87 dst_sel:DWORD dst_unused:UNUSED_PAD src0_sel:DWORD src1_sel:WORD_0
	v_sub_nc_u16 v88, v9, v22
	v_mul_lo_u16 v22, v25, 17
	v_lshrrev_b16 v26, 12, v15
	v_mul_u32_u24_sdwa v15, v13, v18 dst_sel:DWORD dst_unused:UNUSED_PAD src0_sel:WORD_0 src1_sel:DWORD
	global_load_dwordx2 v[36:37], v23, s[8:9]
	v_lshlrev_b32_sdwa v23, v17, v88 dst_sel:DWORD dst_unused:UNUSED_PAD src0_sel:DWORD src1_sel:BYTE_0
	v_sub_nc_u16 v89, v10, v22
	v_mul_u32_u24_sdwa v22, v14, v18 dst_sel:DWORD dst_unused:UNUSED_PAD src0_sel:WORD_0 src1_sel:DWORD
	v_lshrrev_b32_e32 v24, 20, v15
	v_add_nc_u32_e32 v15, 0x165, v0
	global_load_dwordx2 v[38:39], v23, s[8:9]
	v_mul_lo_u16 v40, v26, 17
	v_lshrrev_b32_e32 v23, 20, v22
	v_mul_lo_u16 v22, v24, 17
	v_mul_u32_u24_sdwa v18, v15, v18 dst_sel:DWORD dst_unused:UNUSED_PAD src0_sel:WORD_0 src1_sel:DWORD
	v_lshlrev_b32_sdwa v41, v17, v89 dst_sel:DWORD dst_unused:UNUSED_PAD src0_sel:DWORD src1_sel:BYTE_0
	v_sub_nc_u16 v90, v11, v40
	v_mul_lo_u16 v76, v23, 17
	v_sub_nc_u16 v91, v13, v22
	v_lshrrev_b32_e32 v22, 20, v18
	global_load_dwordx2 v[40:41], v41, s[8:9]
	v_lshlrev_b32_sdwa v42, v17, v90 dst_sel:DWORD dst_unused:UNUSED_PAD src0_sel:DWORD src1_sel:BYTE_0
	v_sub_nc_u16 v92, v14, v76
	v_lshlrev_b32_sdwa v18, v17, v91 dst_sel:DWORD dst_unused:UNUSED_PAD src0_sel:DWORD src1_sel:WORD_0
	v_mul_lo_u16 v78, v22, 17
	v_lshlrev_b32_sdwa v91, v115, v91 dst_sel:DWORD dst_unused:UNUSED_PAD src0_sel:DWORD src1_sel:WORD_0
	global_load_dwordx2 v[42:43], v42, s[8:9]
	v_lshlrev_b32_sdwa v87, v115, v87 dst_sel:DWORD dst_unused:UNUSED_PAD src0_sel:DWORD src1_sel:WORD_0
	global_load_dwordx2 v[76:77], v18, s[8:9]
	v_sub_nc_u16 v93, v15, v78
	v_lshlrev_b32_sdwa v18, v17, v92 dst_sel:DWORD dst_unused:UNUSED_PAD src0_sel:DWORD src1_sel:WORD_0
	v_lshlrev_b32_sdwa v92, v115, v92 dst_sel:DWORD dst_unused:UNUSED_PAD src0_sel:DWORD src1_sel:WORD_0
	v_lshlrev_b32_sdwa v88, v115, v88 dst_sel:DWORD dst_unused:UNUSED_PAD src0_sel:DWORD src1_sel:BYTE_0
	v_lshlrev_b32_sdwa v89, v115, v89 dst_sel:DWORD dst_unused:UNUSED_PAD src0_sel:DWORD src1_sel:BYTE_0
	v_lshlrev_b32_sdwa v17, v17, v93 dst_sel:DWORD dst_unused:UNUSED_PAD src0_sel:DWORD src1_sel:WORD_0
	global_load_dwordx2 v[78:79], v18, s[8:9]
	v_lshlrev_b32_sdwa v93, v115, v93 dst_sel:DWORD dst_unused:UNUSED_PAD src0_sel:DWORD src1_sel:WORD_0
	v_lshlrev_b32_sdwa v90, v115, v90 dst_sel:DWORD dst_unused:UNUSED_PAD src0_sel:DWORD src1_sel:BYTE_0
	v_add3_u32 v44, 0, v44, v83
	global_load_dwordx2 v[80:81], v17, s[8:9]
	ds_read_u16 v94, v1 offset:2244
	ds_read_u16 v95, v1 offset:2346
	;; [unrolled: 1-line block ×25, first 2 shown]
	v_mul_u32_u24_sdwa v82, v82, v114 dst_sel:DWORD dst_unused:UNUSED_PAD src0_sel:WORD_0 src1_sel:DWORD
	v_mul_u32_u24_sdwa v27, v27, v114 dst_sel:DWORD dst_unused:UNUSED_PAD src0_sel:WORD_0 src1_sel:DWORD
	;; [unrolled: 1-line block ×4, first 2 shown]
	v_mul_u32_u24_e32 v24, 0x66, v24
	v_mul_u32_u24_e32 v23, 0x66, v23
	;; [unrolled: 1-line block ×6, first 2 shown]
	v_add3_u32 v27, 0, v27, v88
	v_add3_u32 v25, 0, v25, v89
	;; [unrolled: 1-line block ×8, first 2 shown]
	s_waitcnt vmcnt(10) lgkmcnt(22)
	v_mul_f16_sdwa v83, v96, v28 dst_sel:DWORD dst_unused:UNUSED_PAD src0_sel:DWORD src1_sel:WORD_1
	v_mul_f16_sdwa v115, v74, v28 dst_sel:DWORD dst_unused:UNUSED_PAD src0_sel:DWORD src1_sel:WORD_1
	;; [unrolled: 1-line block ×4, first 2 shown]
	s_waitcnt vmcnt(9) lgkmcnt(21)
	v_mul_f16_sdwa v121, v97, v30 dst_sel:DWORD dst_unused:UNUSED_PAD src0_sel:DWORD src1_sel:WORD_1
	v_mul_f16_sdwa v123, v95, v31 dst_sel:DWORD dst_unused:UNUSED_PAD src0_sel:DWORD src1_sel:WORD_1
	;; [unrolled: 1-line block ×3, first 2 shown]
	v_fma_f16 v74, v74, v28, -v83
	v_fmac_f16_e32 v115, v96, v28
	v_fma_f16 v28, v75, v29, -v119
	v_fmac_f16_e32 v120, v94, v29
	v_fma_f16 v29, v67, v30, -v121
	v_fma_f16 v66, v66, v31, -v123
	s_waitcnt vmcnt(8) lgkmcnt(12)
	v_mul_f16_sdwa v121, v104, v32 dst_sel:DWORD dst_unused:UNUSED_PAD src0_sel:DWORD src1_sel:WORD_1
	v_fmac_f16_e32 v124, v95, v31
	v_mul_f16_sdwa v31, v72, v32 dst_sel:DWORD dst_unused:UNUSED_PAD src0_sel:DWORD src1_sel:WORD_1
	s_waitcnt lgkmcnt(4)
	v_mul_f16_sdwa v95, v112, v33 dst_sel:DWORD dst_unused:UNUSED_PAD src0_sel:DWORD src1_sel:WORD_1
	v_mul_f16_sdwa v123, v73, v33 dst_sel:DWORD dst_unused:UNUSED_PAD src0_sel:DWORD src1_sel:WORD_1
	v_fma_f16 v72, v72, v32, -v121
	v_mul_f16_sdwa v122, v67, v30 dst_sel:DWORD dst_unused:UNUSED_PAD src0_sel:DWORD src1_sel:WORD_1
	v_fmac_f16_e32 v31, v104, v32
	v_fma_f16 v73, v73, v33, -v95
	v_fmac_f16_e32 v123, v112, v33
	v_fmac_f16_e32 v122, v97, v30
	ds_read_u16 v30, v1
	ds_read_u16 v67, v1 offset:102
	ds_read_u16 v75, v1 offset:204
	ds_read_u16 v83, v1 offset:306
	ds_read_u16 v94, v1 offset:408
	ds_read_u16 v96, v1 offset:510
	ds_read_u16 v97, v1 offset:612
	ds_read_u16 v119, v1 offset:714
	s_waitcnt vmcnt(7)
	v_mul_f16_sdwa v121, v105, v34 dst_sel:DWORD dst_unused:UNUSED_PAD src0_sel:DWORD src1_sel:WORD_1
	v_mul_f16_sdwa v32, v69, v34 dst_sel:DWORD dst_unused:UNUSED_PAD src0_sel:DWORD src1_sel:WORD_1
	s_waitcnt lgkmcnt(11)
	v_mul_f16_sdwa v95, v113, v35 dst_sel:DWORD dst_unused:UNUSED_PAD src0_sel:DWORD src1_sel:WORD_1
	v_mul_f16_sdwa v33, v71, v35 dst_sel:DWORD dst_unused:UNUSED_PAD src0_sel:DWORD src1_sel:WORD_1
	s_waitcnt vmcnt(0) lgkmcnt(0)
	v_fma_f16 v69, v69, v34, -v121
	v_fmac_f16_e32 v32, v105, v34
	v_fma_f16 v71, v71, v35, -v95
	v_mul_f16_sdwa v104, v117, v36 dst_sel:DWORD dst_unused:UNUSED_PAD src0_sel:DWORD src1_sel:WORD_1
	v_mul_f16_sdwa v112, v70, v36 dst_sel:DWORD dst_unused:UNUSED_PAD src0_sel:DWORD src1_sel:WORD_1
	;; [unrolled: 1-line block ×4, first 2 shown]
	v_fmac_f16_e32 v33, v113, v35
	v_fma_f16 v70, v70, v36, -v104
	v_mul_f16_sdwa v95, v98, v38 dst_sel:DWORD dst_unused:UNUSED_PAD src0_sel:DWORD src1_sel:WORD_1
	v_mul_f16_sdwa v35, v58, v38 dst_sel:DWORD dst_unused:UNUSED_PAD src0_sel:DWORD src1_sel:WORD_1
	;; [unrolled: 1-line block ×4, first 2 shown]
	v_fmac_f16_e32 v112, v117, v36
	v_fma_f16 v68, v68, v37, -v121
	v_fmac_f16_e32 v34, v118, v37
	v_fma_f16 v58, v58, v38, -v95
	;; [unrolled: 2-line block ×3, first 2 shown]
	v_mul_f16_sdwa v104, v99, v40 dst_sel:DWORD dst_unused:UNUSED_PAD src0_sel:DWORD src1_sel:WORD_1
	v_mul_f16_sdwa v36, v55, v40 dst_sel:DWORD dst_unused:UNUSED_PAD src0_sel:DWORD src1_sel:WORD_1
	;; [unrolled: 1-line block ×4, first 2 shown]
	v_fmac_f16_e32 v113, v106, v39
	v_fma_f16 v55, v55, v40, -v104
	v_mul_f16_sdwa v118, v100, v42 dst_sel:DWORD dst_unused:UNUSED_PAD src0_sel:DWORD src1_sel:WORD_1
	v_mul_f16_sdwa v121, v54, v42 dst_sel:DWORD dst_unused:UNUSED_PAD src0_sel:DWORD src1_sel:WORD_1
	v_mul_f16_sdwa v95, v108, v43 dst_sel:DWORD dst_unused:UNUSED_PAD src0_sel:DWORD src1_sel:WORD_1
	v_mul_f16_sdwa v38, v63, v43 dst_sel:DWORD dst_unused:UNUSED_PAD src0_sel:DWORD src1_sel:WORD_1
	v_mul_f16_sdwa v98, v101, v76 dst_sel:DWORD dst_unused:UNUSED_PAD src0_sel:DWORD src1_sel:WORD_1
	v_mul_f16_sdwa v39, v59, v76 dst_sel:DWORD dst_unused:UNUSED_PAD src0_sel:DWORD src1_sel:WORD_1
	v_mul_f16_sdwa v105, v109, v77 dst_sel:DWORD dst_unused:UNUSED_PAD src0_sel:DWORD src1_sel:WORD_1
	v_fmac_f16_e32 v36, v99, v40
	v_fma_f16 v64, v64, v41, -v117
	v_mul_f16_sdwa v104, v102, v78 dst_sel:DWORD dst_unused:UNUSED_PAD src0_sel:DWORD src1_sel:WORD_1
	v_mul_f16_sdwa v40, v57, v78 dst_sel:DWORD dst_unused:UNUSED_PAD src0_sel:DWORD src1_sel:WORD_1
	;; [unrolled: 1-line block ×3, first 2 shown]
	v_fmac_f16_e32 v37, v107, v41
	v_mul_f16_sdwa v41, v61, v79 dst_sel:DWORD dst_unused:UNUSED_PAD src0_sel:DWORD src1_sel:WORD_1
	v_fma_f16 v54, v54, v42, -v118
	v_mul_f16_sdwa v118, v111, v81 dst_sel:DWORD dst_unused:UNUSED_PAD src0_sel:DWORD src1_sel:WORD_1
	v_fmac_f16_e32 v121, v100, v42
	v_mul_f16_sdwa v42, v60, v81 dst_sel:DWORD dst_unused:UNUSED_PAD src0_sel:DWORD src1_sel:WORD_1
	v_mul_f16_sdwa v106, v62, v77 dst_sel:DWORD dst_unused:UNUSED_PAD src0_sel:DWORD src1_sel:WORD_1
	v_mul_f16_sdwa v107, v103, v80 dst_sel:DWORD dst_unused:UNUSED_PAD src0_sel:DWORD src1_sel:WORD_1
	v_mul_f16_sdwa v117, v56, v80 dst_sel:DWORD dst_unused:UNUSED_PAD src0_sel:DWORD src1_sel:WORD_1
	v_fma_f16 v63, v63, v43, -v95
	v_fmac_f16_e32 v38, v108, v43
	v_fma_f16 v43, v59, v76, -v98
	v_fmac_f16_e32 v39, v101, v76
	v_fma_f16 v59, v62, v77, -v105
	v_fma_f16 v57, v57, v78, -v104
	v_fmac_f16_e32 v40, v102, v78
	v_fma_f16 v61, v61, v79, -v99
	v_fmac_f16_e32 v41, v110, v79
	;; [unrolled: 2-line block ×3, first 2 shown]
	v_add_f16_e32 v62, v53, v74
	v_add_f16_e32 v76, v74, v28
	;; [unrolled: 1-line block ×6, first 2 shown]
	v_fmac_f16_e32 v106, v109, v77
	v_fma_f16 v56, v56, v80, -v107
	v_fmac_f16_e32 v117, v103, v80
	v_sub_f16_e32 v77, v115, v120
	v_sub_f16_e32 v74, v74, v28
	v_add_f16_e32 v80, v52, v29
	v_sub_f16_e32 v95, v122, v124
	v_add_f16_e32 v98, v67, v122
	;; [unrolled: 2-line block ×3, first 2 shown]
	v_add_f16_e32 v105, v69, v71
	v_sub_f16_e32 v107, v32, v33
	v_add_f16_e32 v108, v17, v32
	v_add_f16_e32 v32, v32, v33
	;; [unrolled: 1-line block ×4, first 2 shown]
	v_sub_f16_e32 v111, v112, v34
	v_add_f16_e32 v115, v116, v112
	v_add_f16_e32 v112, v112, v34
	;; [unrolled: 1-line block ×3, first 2 shown]
	v_fmac_f16_e32 v53, -0.5, v76
	v_add_f16_e32 v62, v78, v120
	v_fmac_f16_e32 v30, -0.5, v79
	v_fmac_f16_e32 v52, -0.5, v81
	;; [unrolled: 1-line block ×3, first 2 shown]
	v_add_f16_e32 v78, v51, v58
	v_add_f16_e32 v79, v58, v65
	;; [unrolled: 1-line block ×4, first 2 shown]
	v_sub_f16_e32 v102, v31, v123
	v_add_f16_e32 v103, v18, v31
	v_add_f16_e32 v31, v31, v123
	v_sub_f16_e32 v69, v69, v71
	v_sub_f16_e32 v70, v70, v68
	v_add_f16_e32 v66, v80, v66
	v_add_f16_e32 v76, v98, v124
	v_sub_f16_e32 v80, v35, v113
	v_add_f16_e32 v81, v75, v35
	v_add_f16_e32 v35, v35, v113
	v_sub_f16_e32 v58, v58, v65
	v_add_f16_e32 v99, v55, v64
	v_sub_f16_e32 v118, v36, v37
	v_add_f16_e32 v120, v83, v36
	v_add_f16_e32 v36, v36, v37
	;; [unrolled: 1-line block ×4, first 2 shown]
	v_sub_f16_e32 v104, v39, v106
	v_fmac_f16_e32 v5, -0.5, v105
	v_add_f16_e32 v105, v96, v39
	v_add_f16_e32 v39, v39, v106
	v_fmac_f16_e32 v17, -0.5, v32
	v_add_f16_e32 v32, v57, v61
	v_add_f16_e32 v68, v109, v68
	v_sub_f16_e32 v109, v40, v41
	v_fmac_f16_e32 v46, -0.5, v110
	v_add_f16_e32 v110, v97, v40
	v_add_f16_e32 v40, v40, v41
	v_fmac_f16_e32 v116, -0.5, v112
	v_fmamk_f16 v112, v77, 0x3aee, v53
	v_fmac_f16_e32 v53, 0xbaee, v77
	v_fmamk_f16 v77, v74, 0xbaee, v30
	v_fmac_f16_e32 v30, 0x3aee, v74
	;; [unrolled: 2-line block ×4, first 2 shown]
	v_add_f16_e32 v29, v56, v60
	v_add_f16_e32 v65, v78, v65
	v_sub_f16_e32 v78, v117, v42
	v_fmac_f16_e32 v51, -0.5, v79
	v_add_f16_e32 v79, v119, v117
	v_add_f16_e32 v117, v117, v42
	v_sub_f16_e32 v72, v72, v73
	v_add_f16_e32 v73, v100, v73
	v_sub_f16_e32 v100, v121, v38
	v_fmac_f16_e32 v4, -0.5, v101
	v_add_f16_e32 v101, v94, v121
	v_add_f16_e32 v121, v121, v38
	v_fmac_f16_e32 v18, -0.5, v31
	v_add_f16_e32 v31, v43, v59
	v_add_f16_e32 v98, v50, v55
	v_sub_f16_e32 v55, v55, v64
	v_add_f16_e32 v122, v49, v54
	v_add_f16_e32 v103, v103, v123
	;; [unrolled: 1-line block ×3, first 2 shown]
	v_sub_f16_e32 v43, v43, v59
	v_add_f16_e32 v33, v108, v33
	v_add_f16_e32 v108, v47, v57
	v_sub_f16_e32 v57, v57, v61
	v_add_f16_e32 v34, v115, v34
	v_add_f16_e32 v115, v45, v56
	v_sub_f16_e32 v56, v56, v60
	v_fmac_f16_e32 v75, -0.5, v35
	v_fmac_f16_e32 v50, -0.5, v99
	v_fmac_f16_e32 v83, -0.5, v36
	v_fmac_f16_e32 v49, -0.5, v124
	v_fmac_f16_e32 v96, -0.5, v39
	v_fmac_f16_e32 v47, -0.5, v32
	v_fmac_f16_e32 v97, -0.5, v40
	v_fmac_f16_e32 v45, -0.5, v29
	v_fmac_f16_e32 v119, -0.5, v117
	v_sub_f16_e32 v54, v54, v63
	v_fmac_f16_e32 v94, -0.5, v121
	v_fmac_f16_e32 v48, -0.5, v31
	v_add_f16_e32 v35, v98, v64
	v_add_f16_e32 v59, v123, v59
	;; [unrolled: 1-line block ×5, first 2 shown]
	v_fmamk_f16 v41, v102, 0x3aee, v4
	v_fmac_f16_e32 v4, 0xbaee, v102
	v_fmamk_f16 v42, v72, 0xbaee, v18
	v_fmac_f16_e32 v18, 0x3aee, v72
	;; [unrolled: 2-line block ×6, first 2 shown]
	v_fmamk_f16 v58, v118, 0x3aee, v50
	v_fmamk_f16 v72, v55, 0xbaee, v83
	v_fmac_f16_e32 v83, 0x3aee, v55
	v_fmamk_f16 v55, v100, 0x3aee, v49
	v_fmamk_f16 v80, v43, 0xbaee, v96
	v_fmac_f16_e32 v96, 0x3aee, v43
	;; [unrolled: 3-line block ×3, first 2 shown]
	v_fmamk_f16 v57, v78, 0x3aee, v45
	v_fmac_f16_e32 v45, 0xbaee, v78
	v_fmamk_f16 v78, v56, 0xbaee, v119
	v_fmac_f16_e32 v119, 0x3aee, v56
	s_barrier
	buffer_gl0_inv
	v_add3_u32 v56, 0, v82, v84
	ds_write_b16 v44, v28
	v_add3_u32 v28, 0, v23, v92
	v_fmac_f16_e32 v50, 0xbaee, v118
	v_fmac_f16_e32 v49, 0xbaee, v100
	v_fmamk_f16 v79, v54, 0xbaee, v94
	v_fmac_f16_e32 v94, 0x3aee, v54
	v_fmamk_f16 v54, v104, 0x3aee, v48
	v_fmac_f16_e32 v47, 0xbaee, v109
	v_add_f16_e32 v36, v122, v63
	v_add_f16_e32 v40, v115, v60
	v_fmamk_f16 v60, v107, 0x3aee, v5
	v_fmac_f16_e32 v48, 0xbaee, v104
	v_fmac_f16_e32 v5, 0xbaee, v107
	v_fmamk_f16 v63, v111, 0x3aee, v46
	v_fmac_f16_e32 v46, 0xbaee, v111
	ds_write_b16 v44, v112 offset:34
	ds_write_b16 v44, v53 offset:68
	ds_write_b16 v56, v66
	ds_write_b16 v56, v74 offset:34
	ds_write_b16 v56, v52 offset:68
	ds_write_b16 v27, v65
	;; [unrolled: 3-line block ×10, first 2 shown]
	ds_write_b16 v21, v63 offset:34
	ds_write_b16 v21, v46 offset:68
	v_mul_u32_u24_e32 v4, 10, v0
	v_add_f16_e32 v37, v120, v37
	v_add_f16_e32 v38, v101, v38
	;; [unrolled: 1-line block ×4, first 2 shown]
	v_lshlrev_b32_e32 v4, 2, v4
	s_waitcnt lgkmcnt(0)
	s_barrier
	buffer_gl0_inv
	ds_read_u16 v23, v1
	ds_read_u16 v47, v1 offset:102
	ds_read_u16 v43, v1 offset:1632
	;; [unrolled: 1-line block ×32, first 2 shown]
	s_waitcnt lgkmcnt(0)
	s_barrier
	buffer_gl0_inv
	ds_write_b16 v44, v62
	ds_write_b16 v44, v77 offset:34
	ds_write_b16 v44, v30 offset:68
	ds_write_b16 v56, v76
	ds_write_b16 v56, v95 offset:34
	ds_write_b16 v56, v67 offset:68
	;; [unrolled: 3-line block ×11, first 2 shown]
	s_waitcnt lgkmcnt(0)
	s_barrier
	buffer_gl0_inv
	s_clause 0x2
	global_load_dwordx4 v[17:20], v4, s[8:9] offset:136
	global_load_dwordx4 v[36:39], v4, s[8:9] offset:152
	global_load_dwordx2 v[24:25], v4, s[8:9] offset:168
	v_mul_lo_u16 v4, 0xa1, v16
	v_lshrrev_b16 v4, 13, v4
	v_mul_lo_u16 v4, v4, 51
	v_sub_nc_u16 v4, v9, v4
	v_and_b32_e32 v4, 0xff, v4
	v_mul_u32_u24_e32 v16, 10, v4
	v_lshl_add_u32 v4, v4, 1, 0
	v_lshlrev_b32_e32 v16, 2, v16
	s_clause 0x2
	global_load_dwordx4 v[53:56], v16, s[8:9] offset:136
	global_load_dwordx4 v[59:62], v16, s[8:9] offset:152
	global_load_dwordx2 v[41:42], v16, s[8:9] offset:168
	ds_read_u16 v80, v1
	ds_read_u16 v73, v1 offset:102
	ds_read_u16 v16, v1 offset:306
	;; [unrolled: 1-line block ×32, first 2 shown]
	s_waitcnt vmcnt(0) lgkmcnt(0)
	s_barrier
	buffer_gl0_inv
	v_mul_f16_sdwa v66, v16, v17 dst_sel:DWORD dst_unused:UNUSED_PAD src0_sel:DWORD src1_sel:WORD_1
	v_mul_f16_sdwa v113, v52, v17 dst_sel:DWORD dst_unused:UNUSED_PAD src0_sel:DWORD src1_sel:WORD_1
	;; [unrolled: 1-line block ×12, first 2 shown]
	v_fma_f16 v127, v52, v17, -v66
	v_mul_f16_sdwa v79, v29, v19 dst_sel:DWORD dst_unused:UNUSED_PAD src0_sel:DWORD src1_sel:WORD_1
	v_fmac_f16_e32 v113, v16, v17
	v_fma_f16 v48, v48, v18, -v67
	v_mul_f16_sdwa v16, v31, v20 dst_sel:DWORD dst_unused:UNUSED_PAD src0_sel:DWORD src1_sel:WORD_1
	v_fmac_f16_e32 v114, v22, v18
	v_fma_f16 v128, v57, v19, -v71
	v_fma_f16 v130, v58, v20, -v72
	v_mul_f16_sdwa v131, v44, v37 dst_sel:DWORD dst_unused:UNUSED_PAD src0_sel:DWORD src1_sel:WORD_1
	v_mul_f16_sdwa v58, v88, v37 dst_sel:DWORD dst_unused:UNUSED_PAD src0_sel:DWORD src1_sel:WORD_1
	v_fma_f16 v52, v51, v17, -v76
	v_fma_f16 v76, v40, v18, -v77
	v_fmac_f16_e32 v75, v26, v18
	v_mul_f16_sdwa v71, v46, v39 dst_sel:DWORD dst_unused:UNUSED_PAD src0_sel:DWORD src1_sel:WORD_1
	v_mul_f16_sdwa v18, v83, v24 dst_sel:DWORD dst_unused:UNUSED_PAD src0_sel:DWORD src1_sel:WORD_1
	v_mul_f16_sdwa v115, v57, v19 dst_sel:DWORD dst_unused:UNUSED_PAD src0_sel:DWORD src1_sel:WORD_1
	v_mul_f16_sdwa v50, v51, v17 dst_sel:DWORD dst_unused:UNUSED_PAD src0_sel:DWORD src1_sel:WORD_1
	v_mul_f16_sdwa v70, v68, v19 dst_sel:DWORD dst_unused:UNUSED_PAD src0_sel:DWORD src1_sel:WORD_1
	v_mul_f16_sdwa v66, v65, v20 dst_sel:DWORD dst_unused:UNUSED_PAD src0_sel:DWORD src1_sel:WORD_1
	v_mul_f16_sdwa v51, v78, v39 dst_sel:DWORD dst_unused:UNUSED_PAD src0_sel:DWORD src1_sel:WORD_1
	v_fma_f16 v72, v68, v19, -v79
	v_fma_f16 v68, v65, v20, -v16
	;; [unrolled: 1-line block ×3, first 2 shown]
	v_fmac_f16_e32 v35, v34, v37
	v_fma_f16 v65, v88, v37, -v131
	v_fmac_f16_e32 v58, v44, v37
	v_fmac_f16_e32 v71, v78, v39
	v_fma_f16 v78, v99, v24, -v18
	v_add_f16_e32 v18, v23, v127
	v_add_f16_e32 v37, v80, v113
	v_fmac_f16_e32 v115, v28, v19
	v_mul_f16_sdwa v117, v95, v36 dst_sel:DWORD dst_unused:UNUSED_PAD src0_sel:DWORD src1_sel:WORD_1
	v_mul_f16_sdwa v33, v63, v36 dst_sel:DWORD dst_unused:UNUSED_PAD src0_sel:DWORD src1_sel:WORD_1
	v_add_f16_e32 v18, v18, v48
	v_add_f16_e32 v37, v37, v114
	v_mul_f16_sdwa v126, v92, v25 dst_sel:DWORD dst_unused:UNUSED_PAD src0_sel:DWORD src1_sel:WORD_1
	v_fmac_f16_e32 v116, v30, v20
	v_mul_f16_sdwa v122, v45, v39 dst_sel:DWORD dst_unused:UNUSED_PAD src0_sel:DWORD src1_sel:WORD_1
	v_add_f16_e32 v18, v18, v128
	v_add_f16_e32 v37, v37, v115
	v_mul_f16_sdwa v123, v81, v24 dst_sel:DWORD dst_unused:UNUSED_PAD src0_sel:DWORD src1_sel:WORD_1
	v_mul_f16_sdwa v124, v100, v24 dst_sel:DWORD dst_unused:UNUSED_PAD src0_sel:DWORD src1_sel:WORD_1
	;; [unrolled: 1-line block ×5, first 2 shown]
	v_fmac_f16_e32 v66, v31, v20
	v_mul_f16_sdwa v20, v94, v53 dst_sel:DWORD dst_unused:UNUSED_PAD src0_sel:DWORD src1_sel:WORD_1
	v_mul_f16_sdwa v40, v49, v53 dst_sel:DWORD dst_unused:UNUSED_PAD src0_sel:DWORD src1_sel:WORD_1
	v_fma_f16 v117, v63, v36, -v117
	v_fmac_f16_e32 v33, v95, v36
	v_fmac_f16_e32 v126, v109, v25
	v_mul_f16_sdwa v88, v112, v42 dst_sel:DWORD dst_unused:UNUSED_PAD src0_sel:DWORD src1_sel:WORD_1
	v_mul_f16_sdwa v44, v102, v42 dst_sel:DWORD dst_unused:UNUSED_PAD src0_sel:DWORD src1_sel:WORD_1
	v_add_f16_e32 v18, v18, v130
	v_add_f16_e32 v37, v37, v116
	v_mul_f16_sdwa v119, v105, v38 dst_sel:DWORD dst_unused:UNUSED_PAD src0_sel:DWORD src1_sel:WORD_1
	v_mul_f16_sdwa v120, v74, v38 dst_sel:DWORD dst_unused:UNUSED_PAD src0_sel:DWORD src1_sel:WORD_1
	;; [unrolled: 1-line block ×5, first 2 shown]
	v_fmac_f16_e32 v70, v29, v19
	v_mul_f16_sdwa v29, v98, v54 dst_sel:DWORD dst_unused:UNUSED_PAD src0_sel:DWORD src1_sel:WORD_1
	v_mul_f16_sdwa v31, v85, v54 dst_sel:DWORD dst_unused:UNUSED_PAD src0_sel:DWORD src1_sel:WORD_1
	v_fmac_f16_e32 v122, v64, v39
	v_fma_f16 v100, v100, v24, -v123
	v_fmac_f16_e32 v124, v81, v24
	v_fma_f16 v81, v92, v25, -v125
	v_fma_f16 v64, v43, v36, -v129
	v_mul_f16_sdwa v43, v110, v41 dst_sel:DWORD dst_unused:UNUSED_PAD src0_sel:DWORD src1_sel:WORD_1
	v_fmac_f16_e32 v57, v32, v36
	v_mul_f16_sdwa v32, v93, v41 dst_sel:DWORD dst_unused:UNUSED_PAD src0_sel:DWORD src1_sel:WORD_1
	v_fma_f16 v49, v49, v53, -v20
	v_fmac_f16_e32 v40, v94, v53
	v_fma_f16 v53, v102, v42, -v88
	v_fmac_f16_e32 v44, v112, v42
	v_sub_f16_e32 v42, v113, v126
	v_add_f16_e32 v18, v18, v117
	v_add_f16_e32 v37, v37, v33
	v_fmac_f16_e32 v50, v21, v17
	v_mul_f16_sdwa v77, v99, v24 dst_sel:DWORD dst_unused:UNUSED_PAD src0_sel:DWORD src1_sel:WORD_1
	v_mul_f16_sdwa v19, v108, v25 dst_sel:DWORD dst_unused:UNUSED_PAD src0_sel:DWORD src1_sel:WORD_1
	;; [unrolled: 1-line block ×7, first 2 shown]
	v_fma_f16 v118, v74, v38, -v119
	v_mul_f16_sdwa v119, v107, v59 dst_sel:DWORD dst_unused:UNUSED_PAD src0_sel:DWORD src1_sel:WORD_1
	v_fmac_f16_e32 v120, v105, v38
	v_mul_f16_sdwa v16, v90, v59 dst_sel:DWORD dst_unused:UNUSED_PAD src0_sel:DWORD src1_sel:WORD_1
	v_fma_f16 v45, v45, v39, -v121
	v_mul_f16_sdwa v105, v106, v60 dst_sel:DWORD dst_unused:UNUSED_PAD src0_sel:DWORD src1_sel:WORD_1
	v_mul_f16_sdwa v17, v87, v60 dst_sel:DWORD dst_unused:UNUSED_PAD src0_sel:DWORD src1_sel:WORD_1
	v_mul_f16_sdwa v121, v104, v61 dst_sel:DWORD dst_unused:UNUSED_PAD src0_sel:DWORD src1_sel:WORD_1
	v_mul_f16_sdwa v22, v86, v61 dst_sel:DWORD dst_unused:UNUSED_PAD src0_sel:DWORD src1_sel:WORD_1
	v_mul_f16_sdwa v92, v111, v62 dst_sel:DWORD dst_unused:UNUSED_PAD src0_sel:DWORD src1_sel:WORD_1
	v_mul_f16_sdwa v28, v101, v62 dst_sel:DWORD dst_unused:UNUSED_PAD src0_sel:DWORD src1_sel:WORD_1
	v_fma_f16 v69, v69, v38, -v30
	v_fmac_f16_e32 v67, v103, v38
	v_fma_f16 v74, v46, v39, -v51
	v_fma_f16 v34, v85, v54, -v29
	v_fmac_f16_e32 v31, v98, v54
	v_fma_f16 v36, v93, v41, -v43
	v_fmac_f16_e32 v32, v110, v41
	v_add_f16_e32 v38, v127, v81
	v_sub_f16_e32 v41, v127, v81
	v_add_f16_e32 v43, v48, v100
	v_sub_f16_e32 v51, v48, v100
	v_sub_f16_e32 v54, v114, v124
	v_mul_f16_e32 v48, 0xb853, v42
	v_add_f16_e32 v18, v18, v89
	v_add_f16_e32 v37, v37, v35
	v_fmac_f16_e32 v77, v83, v24
	v_fma_f16 v63, v91, v25, -v19
	v_fmac_f16_e32 v79, v108, v25
	v_fma_f16 v29, v84, v55, -v132
	;; [unrolled: 2-line block ×7, first 2 shown]
	v_fmac_f16_e32 v28, v111, v62
	v_add_f16_e32 v39, v113, v126
	v_mul_f16_e32 v55, 0xb853, v41
	v_mul_f16_e32 v56, 0xbb47, v42
	;; [unrolled: 1-line block ×10, first 2 shown]
	v_fma_f16 v86, v38, 0x3abb, -v48
	v_add_f16_e32 v18, v18, v118
	v_add_f16_e32 v37, v37, v120
	v_add_f16_e32 v46, v114, v124
	v_mul_f16_e32 v84, 0xbb47, v51
	v_mul_f16_e32 v85, 0xba0c, v54
	v_fmamk_f16 v87, v39, 0x3abb, v55
	v_fmac_f16_e32 v48, 0x3abb, v38
	v_fma_f16 v55, v39, 0x3abb, -v55
	v_fma_f16 v88, v38, 0x36a6, -v56
	v_fmamk_f16 v90, v39, 0x36a6, v59
	v_fmac_f16_e32 v56, 0x36a6, v38
	v_fma_f16 v59, v39, 0x36a6, -v59
	v_fma_f16 v91, v38, 0xb08e, -v60
	v_fmamk_f16 v92, v39, 0xb08e, v61
	v_fmac_f16_e32 v60, 0xb08e, v38
	v_fma_f16 v61, v39, 0xb08e, -v61
	v_fma_f16 v93, v38, 0xb93d, -v62
	v_fmamk_f16 v94, v39, 0xb93d, v82
	v_fmac_f16_e32 v62, 0xb93d, v38
	v_fma_f16 v82, v39, 0xb93d, -v82
	v_fma_f16 v95, v38, 0xbbad, -v42
	v_fmamk_f16 v96, v39, 0xbbad, v41
	v_fmac_f16_e32 v42, 0xbbad, v38
	v_fma_f16 v38, v39, 0xbbad, -v41
	v_fma_f16 v39, v43, 0x36a6, -v83
	v_add_f16_e32 v41, v23, v86
	v_add_f16_e32 v18, v18, v45
	;; [unrolled: 1-line block ×20, first 2 shown]
	v_fma_f16 v41, v46, 0x36a6, -v84
	v_fma_f16 v80, v43, 0xb93d, -v85
	v_add_f16_e32 v48, v23, v48
	v_add_f16_e32 v56, v23, v56
	;; [unrolled: 1-line block ×7, first 2 shown]
	v_fmamk_f16 v37, v46, 0x36a6, v84
	v_add_f16_e32 v41, v41, v55
	v_add_f16_e32 v55, v80, v87
	v_mul_f16_e32 v80, 0x3482, v54
	v_fmac_f16_e32 v83, 0x36a6, v43
	v_add_f16_e32 v37, v37, v86
	v_mul_f16_e32 v81, 0xba0c, v51
	v_fmac_f16_e32 v85, 0xb93d, v43
	v_fma_f16 v86, v43, 0xbbad, -v80
	v_add_f16_e32 v48, v83, v48
	v_mul_f16_e32 v84, 0x3482, v51
	v_fmamk_f16 v83, v46, 0xb93d, v81
	v_fma_f16 v81, v46, 0xb93d, -v81
	v_add_f16_e32 v56, v85, v56
	v_add_f16_e32 v85, v86, v90
	v_mul_f16_e32 v86, 0x3beb, v54
	v_fmac_f16_e32 v80, 0xbbad, v43
	v_mul_f16_e32 v87, 0x3beb, v51
	v_add_f16_e32 v83, v83, v88
	v_add_f16_e32 v59, v81, v59
	v_fmamk_f16 v81, v46, 0xbbad, v84
	v_fma_f16 v84, v46, 0xbbad, -v84
	v_fma_f16 v88, v43, 0xb08e, -v86
	v_add_f16_e32 v60, v80, v60
	v_mul_f16_e32 v54, 0x3853, v54
	v_fmamk_f16 v80, v46, 0xb08e, v87
	v_fma_f16 v87, v46, 0xb08e, -v87
	v_add_f16_e32 v61, v84, v61
	v_add_f16_e32 v84, v88, v92
	v_fmac_f16_e32 v86, 0xb08e, v43
	v_fma_f16 v88, v43, 0x3abb, -v54
	v_mul_f16_e32 v51, 0x3853, v51
	v_add_f16_e32 v82, v87, v82
	v_sub_f16_e32 v87, v115, v122
	v_fmac_f16_e32 v54, 0x3abb, v43
	v_sub_f16_e32 v43, v128, v45
	v_add_f16_e32 v81, v81, v91
	v_add_f16_e32 v62, v86, v62
	v_add_f16_e32 v86, v88, v94
	v_fmamk_f16 v88, v46, 0x3abb, v51
	v_add_f16_e32 v45, v128, v45
	v_mul_f16_e32 v90, 0xbbeb, v87
	v_fma_f16 v46, v46, 0x3abb, -v51
	v_add_f16_e32 v51, v115, v122
	v_mul_f16_e32 v91, 0xbbeb, v43
	v_add_f16_e32 v42, v54, v42
	v_fma_f16 v92, v45, 0xb08e, -v90
	v_add_f16_e32 v38, v46, v38
	v_mul_f16_e32 v54, 0x3482, v87
	v_fmamk_f16 v46, v51, 0xb08e, v91
	v_fmac_f16_e32 v90, 0xb08e, v45
	v_add_f16_e32 v39, v92, v39
	v_fma_f16 v91, v51, 0xb08e, -v91
	v_mul_f16_e32 v92, 0x3482, v43
	v_add_f16_e32 v37, v46, v37
	v_fma_f16 v46, v45, 0xbbad, -v54
	v_add_f16_e32 v48, v90, v48
	v_mul_f16_e32 v90, 0x3b47, v87
	v_add_f16_e32 v80, v80, v93
	v_add_f16_e32 v41, v91, v41
	;; [unrolled: 1-line block ×3, first 2 shown]
	v_fmamk_f16 v55, v51, 0xbbad, v92
	v_fmac_f16_e32 v54, 0xbbad, v45
	v_fma_f16 v91, v51, 0xbbad, -v92
	v_fma_f16 v92, v45, 0x36a6, -v90
	v_mul_f16_e32 v93, 0x3b47, v43
	v_add_f16_e32 v55, v55, v83
	v_add_f16_e32 v54, v54, v56
	v_add_f16_e32 v56, v91, v59
	v_add_f16_e32 v59, v92, v85
	v_fmamk_f16 v83, v51, 0x36a6, v93
	v_mul_f16_e32 v85, 0xb853, v87
	v_fmac_f16_e32 v90, 0x36a6, v45
	v_mul_f16_e32 v92, 0xb853, v43
	v_fma_f16 v91, v51, 0x36a6, -v93
	v_add_f16_e32 v81, v83, v81
	v_fma_f16 v83, v45, 0x3abb, -v85
	v_add_f16_e32 v60, v90, v60
	v_fmamk_f16 v90, v51, 0x3abb, v92
	v_mul_f16_e32 v87, 0xba0c, v87
	v_add_f16_e32 v61, v91, v61
	v_add_f16_e32 v83, v83, v84
	v_fmac_f16_e32 v85, 0x3abb, v45
	v_fma_f16 v84, v51, 0x3abb, -v92
	v_add_f16_e32 v80, v90, v80
	v_fma_f16 v90, v45, 0xb93d, -v87
	v_mul_f16_e32 v43, 0xba0c, v43
	v_sub_f16_e32 v91, v130, v118
	v_add_f16_e32 v62, v85, v62
	v_add_f16_e32 v82, v84, v82
	v_sub_f16_e32 v84, v116, v120
	v_add_f16_e32 v85, v90, v86
	v_fmamk_f16 v86, v51, 0xb93d, v43
	v_fmac_f16_e32 v87, 0xb93d, v45
	v_fma_f16 v43, v51, 0xb93d, -v43
	v_add_f16_e32 v45, v116, v120
	v_mul_f16_e32 v51, 0xba0c, v91
	v_add_f16_e32 v88, v88, v95
	v_add_f16_e32 v90, v130, v118
	v_mul_f16_e32 v92, 0xba0c, v84
	v_add_f16_e32 v42, v87, v42
	v_add_f16_e32 v38, v43, v38
	v_fmamk_f16 v43, v45, 0xb93d, v51
	v_mul_f16_e32 v87, 0x3beb, v84
	v_fma_f16 v51, v45, 0xb93d, -v51
	v_fma_f16 v93, v90, 0xb93d, -v92
	v_add_f16_e32 v86, v86, v88
	v_fmac_f16_e32 v92, 0xb93d, v90
	v_add_f16_e32 v37, v43, v37
	v_mul_f16_e32 v43, 0x3beb, v91
	v_fma_f16 v88, v90, 0xb08e, -v87
	v_add_f16_e32 v41, v51, v41
	v_mul_f16_e32 v51, 0xb853, v84
	v_add_f16_e32 v48, v92, v48
	v_fmamk_f16 v92, v45, 0xb08e, v43
	v_add_f16_e32 v88, v88, v46
	v_fma_f16 v43, v45, 0xb08e, -v43
	v_fma_f16 v46, v90, 0x3abb, -v51
	v_fmac_f16_e32 v87, 0xb08e, v90
	v_add_f16_e32 v55, v92, v55
	v_mul_f16_e32 v92, 0xb853, v91
	v_add_f16_e32 v43, v43, v56
	v_add_f16_e32 v56, v46, v59
	v_mul_f16_e32 v46, 0xb482, v84
	v_add_f16_e32 v39, v93, v39
	v_add_f16_e32 v54, v87, v54
	v_fmamk_f16 v59, v45, 0x3abb, v92
	v_fmac_f16_e32 v51, 0x3abb, v90
	v_mul_f16_e32 v87, 0xb482, v91
	v_fma_f16 v93, v90, 0xbbad, -v46
	v_fmac_f16_e32 v46, 0xbbad, v90
	v_add_f16_e32 v59, v59, v81
	v_add_f16_e32 v60, v51, v60
	v_fmamk_f16 v51, v45, 0xbbad, v87
	v_add_f16_e32 v81, v93, v83
	v_mul_f16_e32 v83, 0x3b47, v84
	v_fma_f16 v84, v45, 0xbbad, -v87
	v_fma_f16 v92, v45, 0x3abb, -v92
	v_add_f16_e32 v80, v51, v80
	v_mul_f16_e32 v51, 0x3b47, v91
	v_fma_f16 v87, v90, 0x36a6, -v83
	v_sub_f16_e32 v91, v33, v35
	v_add_f16_e32 v62, v46, v62
	v_add_f16_e32 v82, v84, v82
	v_fmamk_f16 v46, v45, 0x36a6, v51
	v_add_f16_e32 v84, v87, v85
	v_add_f16_e32 v85, v117, v89
	v_mul_f16_e32 v87, 0xb482, v91
	v_sub_f16_e32 v89, v117, v89
	v_fma_f16 v45, v45, 0x36a6, -v51
	v_add_f16_e32 v61, v92, v61
	v_add_f16_e32 v86, v46, v86
	v_fmac_f16_e32 v83, 0x36a6, v90
	v_fma_f16 v46, v85, 0xbbad, -v87
	v_add_f16_e32 v90, v33, v35
	v_mul_f16_e32 v33, 0xb482, v89
	v_add_f16_e32 v92, v45, v38
	v_mul_f16_e32 v38, 0x3853, v91
	v_add_f16_e32 v83, v83, v42
	v_add_f16_e32 v46, v46, v39
	v_fmamk_f16 v35, v90, 0xbbad, v33
	v_mul_f16_e32 v39, 0x3853, v89
	v_fma_f16 v33, v90, 0xbbad, -v33
	v_fma_f16 v42, v85, 0x3abb, -v38
	v_fmac_f16_e32 v38, 0x3abb, v85
	v_add_f16_e32 v35, v35, v37
	v_fmamk_f16 v37, v90, 0x3abb, v39
	v_add_f16_e32 v33, v33, v41
	v_add_f16_e32 v51, v42, v88
	v_mul_f16_e32 v41, 0xba0c, v91
	v_mul_f16_e32 v42, 0xba0c, v89
	v_fma_f16 v39, v90, 0x3abb, -v39
	v_add_f16_e32 v37, v37, v55
	v_add_f16_e32 v54, v38, v54
	v_fma_f16 v45, v85, 0xb93d, -v41
	v_fmamk_f16 v55, v90, 0xb93d, v42
	v_fmac_f16_e32 v41, 0xb93d, v85
	v_add_f16_e32 v38, v39, v43
	v_add_f16_e32 v43, v73, v50
	v_fmac_f16_e32 v87, 0xbbad, v85
	v_add_f16_e32 v39, v55, v59
	v_add_f16_e32 v55, v41, v60
	v_fma_f16 v41, v90, 0xb93d, -v42
	v_add_f16_e32 v42, v47, v52
	v_add_f16_e32 v43, v43, v75
	;; [unrolled: 1-line block ×4, first 2 shown]
	v_mul_f16_e32 v45, 0x3b47, v91
	v_mul_f16_e32 v87, 0x3b47, v89
	v_add_f16_e32 v42, v42, v76
	v_add_f16_e32 v43, v43, v70
	;; [unrolled: 1-line block ×3, first 2 shown]
	v_fma_f16 v59, v85, 0x36a6, -v45
	v_fmamk_f16 v61, v90, 0x36a6, v87
	v_fmac_f16_e32 v45, 0x36a6, v85
	v_add_f16_e32 v88, v42, v72
	v_add_f16_e32 v43, v43, v66
	;; [unrolled: 1-line block ×6, first 2 shown]
	v_fma_f16 v61, v90, 0x36a6, -v87
	v_mul_f16_e32 v62, 0xbbeb, v91
	v_add_f16_e32 v81, v43, v57
	v_mul_f16_e32 v80, 0xbbeb, v89
	v_add_f16_e32 v45, v45, v64
	v_add_f16_e32 v43, v61, v82
	v_fma_f16 v61, v85, 0xb08e, -v62
	v_add_f16_e32 v81, v81, v58
	v_fmac_f16_e32 v62, 0xb08e, v85
	v_fmamk_f16 v82, v90, 0xb08e, v80
	v_add_f16_e32 v87, v45, v65
	v_add_f16_e32 v61, v61, v84
	;; [unrolled: 1-line block ×4, first 2 shown]
	v_sub_f16_e32 v83, v50, v79
	v_add_f16_e32 v45, v82, v86
	v_add_f16_e32 v82, v87, v69
	;; [unrolled: 1-line block ×4, first 2 shown]
	v_mul_f16_e32 v85, 0xb853, v83
	v_sub_f16_e32 v86, v52, v63
	v_add_f16_e32 v82, v82, v74
	v_add_f16_e32 v81, v81, v77
	v_fma_f16 v80, v90, 0xb08e, -v80
	v_fma_f16 v88, v84, 0x3abb, -v85
	v_add_f16_e32 v87, v50, v79
	v_add_f16_e32 v82, v82, v78
	v_mul_f16_e32 v89, 0xb853, v86
	v_add_f16_e32 v50, v81, v79
	v_add_f16_e32 v79, v47, v88
	v_mul_f16_e32 v81, 0xbb47, v83
	v_mul_f16_e32 v88, 0xbb47, v86
	;; [unrolled: 1-line block ×8, first 2 shown]
	v_sub_f16_e32 v101, v75, v77
	v_add_f16_e32 v102, v76, v78
	v_sub_f16_e32 v76, v76, v78
	v_add_f16_e32 v52, v80, v92
	v_add_f16_e32 v63, v82, v63
	v_fmamk_f16 v80, v87, 0x3abb, v89
	v_fmac_f16_e32 v85, 0x3abb, v84
	v_fma_f16 v82, v87, 0x3abb, -v89
	v_fma_f16 v89, v84, 0x36a6, -v81
	v_fmamk_f16 v90, v87, 0x36a6, v88
	v_fmac_f16_e32 v81, 0x36a6, v84
	v_fma_f16 v88, v87, 0x36a6, -v88
	v_fma_f16 v92, v84, 0xb08e, -v91
	;; [unrolled: 4-line block ×4, first 2 shown]
	v_fmamk_f16 v100, v87, 0xbbad, v86
	v_mul_f16_e32 v78, 0xbb47, v101
	v_fmac_f16_e32 v83, 0xbbad, v84
	v_fma_f16 v84, v87, 0xbbad, -v86
	v_add_f16_e32 v75, v75, v77
	v_mul_f16_e32 v77, 0xbb47, v76
	v_add_f16_e32 v80, v73, v80
	v_add_f16_e32 v85, v47, v85
	;; [unrolled: 1-line block ×17, first 2 shown]
	v_fma_f16 v86, v102, 0x36a6, -v78
	v_add_f16_e32 v47, v47, v83
	v_add_f16_e32 v73, v73, v84
	v_mul_f16_e32 v83, 0xba0c, v101
	v_fmamk_f16 v84, v75, 0x36a6, v77
	v_fmac_f16_e32 v78, 0x36a6, v102
	v_add_f16_e32 v79, v86, v79
	v_fma_f16 v77, v75, 0x36a6, -v77
	v_fma_f16 v86, v102, 0xb93d, -v83
	v_add_f16_e32 v80, v84, v80
	v_mul_f16_e32 v84, 0xba0c, v76
	v_add_f16_e32 v78, v78, v85
	v_mul_f16_e32 v85, 0x3482, v101
	v_add_f16_e32 v77, v77, v82
	v_add_f16_e32 v82, v86, v89
	v_fmamk_f16 v86, v75, 0xb93d, v84
	v_fmac_f16_e32 v83, 0xb93d, v102
	v_fma_f16 v84, v75, 0xb93d, -v84
	v_mul_f16_e32 v87, 0x3482, v76
	v_fma_f16 v89, v102, 0xbbad, -v85
	v_fmac_f16_e32 v85, 0xbbad, v102
	v_add_f16_e32 v86, v86, v90
	v_add_f16_e32 v81, v83, v81
	;; [unrolled: 1-line block ×3, first 2 shown]
	v_fmamk_f16 v84, v75, 0xbbad, v87
	v_add_f16_e32 v88, v89, v92
	v_mul_f16_e32 v89, 0x3beb, v101
	v_fma_f16 v87, v75, 0xbbad, -v87
	v_mul_f16_e32 v90, 0x3beb, v76
	v_add_f16_e32 v85, v85, v91
	v_mul_f16_e32 v91, 0x3853, v101
	v_add_f16_e32 v84, v84, v95
	v_fma_f16 v92, v102, 0xb08e, -v89
	v_add_f16_e32 v87, v87, v93
	v_fmamk_f16 v93, v75, 0xb08e, v90
	v_fmac_f16_e32 v89, 0xb08e, v102
	v_fma_f16 v90, v75, 0xb08e, -v90
	v_fma_f16 v95, v102, 0x3abb, -v91
	v_mul_f16_e32 v76, 0x3853, v76
	v_add_f16_e32 v92, v92, v96
	v_add_f16_e32 v89, v89, v94
	;; [unrolled: 1-line block ×4, first 2 shown]
	v_sub_f16_e32 v95, v70, v71
	v_sub_f16_e32 v97, v72, v74
	v_fmamk_f16 v96, v75, 0x3abb, v76
	v_fmac_f16_e32 v91, 0x3abb, v102
	v_add_f16_e32 v72, v72, v74
	v_mul_f16_e32 v74, 0xbbeb, v95
	v_fma_f16 v75, v75, 0x3abb, -v76
	v_add_f16_e32 v70, v70, v71
	v_mul_f16_e32 v71, 0xbbeb, v97
	v_add_f16_e32 v76, v96, v100
	v_fma_f16 v96, v72, 0xb08e, -v74
	v_add_f16_e32 v47, v91, v47
	v_add_f16_e32 v73, v75, v73
	v_fmamk_f16 v75, v70, 0xb08e, v71
	v_mul_f16_e32 v91, 0x3482, v95
	v_fma_f16 v71, v70, 0xb08e, -v71
	v_add_f16_e32 v79, v96, v79
	v_fmac_f16_e32 v74, 0xb08e, v72
	v_add_f16_e32 v75, v75, v80
	v_fma_f16 v80, v72, 0xbbad, -v91
	v_mul_f16_e32 v96, 0x3482, v97
	v_add_f16_e32 v71, v71, v77
	v_mul_f16_e32 v77, 0x3b47, v95
	v_add_f16_e32 v93, v93, v98
	v_add_f16_e32 v74, v74, v78
	;; [unrolled: 1-line block ×3, first 2 shown]
	v_fmamk_f16 v80, v70, 0xbbad, v96
	v_fmac_f16_e32 v91, 0xbbad, v72
	v_fma_f16 v82, v70, 0xbbad, -v96
	v_fma_f16 v96, v72, 0x36a6, -v77
	v_mul_f16_e32 v98, 0x3b47, v97
	v_add_f16_e32 v80, v80, v86
	v_add_f16_e32 v81, v91, v81
	;; [unrolled: 1-line block ×4, first 2 shown]
	v_fmamk_f16 v86, v70, 0x36a6, v98
	v_mul_f16_e32 v88, 0xb853, v95
	v_fmac_f16_e32 v77, 0x36a6, v72
	v_fma_f16 v91, v70, 0x36a6, -v98
	v_mul_f16_e32 v96, 0xb853, v97
	v_add_f16_e32 v84, v86, v84
	v_fma_f16 v86, v72, 0x3abb, -v88
	v_add_f16_e32 v77, v77, v85
	v_add_f16_e32 v85, v91, v87
	v_fmamk_f16 v87, v70, 0x3abb, v96
	v_mul_f16_e32 v91, 0xba0c, v95
	v_add_f16_e32 v86, v86, v92
	v_fmac_f16_e32 v88, 0x3abb, v72
	v_fma_f16 v92, v70, 0x3abb, -v96
	v_add_f16_e32 v87, v87, v93
	v_fma_f16 v93, v72, 0xb93d, -v91
	v_mul_f16_e32 v95, 0xba0c, v97
	v_add_f16_e32 v88, v88, v89
	v_add_f16_e32 v89, v92, v90
	v_sub_f16_e32 v90, v66, v67
	v_add_f16_e32 v92, v93, v94
	v_add_f16_e32 v94, v68, v69
	v_sub_f16_e32 v68, v68, v69
	v_fmamk_f16 v93, v70, 0xb93d, v95
	v_mul_f16_e32 v69, 0xba0c, v90
	v_fma_f16 v70, v70, 0xb93d, -v95
	v_add_f16_e32 v66, v66, v67
	v_mul_f16_e32 v67, 0xba0c, v68
	v_fmac_f16_e32 v91, 0xb93d, v72
	v_fma_f16 v72, v94, 0xb93d, -v69
	v_add_f16_e32 v70, v70, v73
	v_fmac_f16_e32 v69, 0xb93d, v94
	v_fmamk_f16 v73, v66, 0xb93d, v67
	v_fma_f16 v67, v66, 0xb93d, -v67
	v_add_f16_e32 v72, v72, v79
	v_mul_f16_e32 v79, 0x3beb, v90
	v_add_f16_e32 v47, v91, v47
	v_add_f16_e32 v73, v73, v75
	v_mul_f16_e32 v75, 0x3beb, v68
	v_add_f16_e32 v69, v69, v74
	v_fma_f16 v91, v94, 0xb08e, -v79
	v_add_f16_e32 v67, v67, v71
	v_mul_f16_e32 v71, 0xb853, v90
	v_fmamk_f16 v74, v66, 0xb08e, v75
	v_fmac_f16_e32 v79, 0xb08e, v94
	v_add_f16_e32 v78, v91, v78
	v_fma_f16 v75, v66, 0xb08e, -v75
	v_fma_f16 v91, v94, 0x3abb, -v71
	v_add_f16_e32 v80, v74, v80
	v_mul_f16_e32 v74, 0xb853, v68
	v_add_f16_e32 v79, v79, v81
	v_add_f16_e32 v81, v75, v82
	;; [unrolled: 1-line block ×3, first 2 shown]
	v_fmac_f16_e32 v71, 0x3abb, v94
	v_fmamk_f16 v83, v66, 0x3abb, v74
	v_fma_f16 v74, v66, 0x3abb, -v74
	v_mul_f16_e32 v91, 0xb482, v68
	v_mul_f16_e32 v75, 0xb482, v90
	;; [unrolled: 1-line block ×3, first 2 shown]
	v_add_f16_e32 v83, v83, v84
	v_add_f16_e32 v85, v74, v85
	v_mul_f16_e32 v74, 0x3b47, v90
	v_add_f16_e32 v84, v71, v77
	v_fmamk_f16 v71, v66, 0xbbad, v91
	v_sub_f16_e32 v90, v57, v58
	v_sub_f16_e32 v95, v64, v65
	v_fma_f16 v77, v94, 0x36a6, -v74
	v_add_f16_e32 v76, v93, v76
	v_add_f16_e32 v87, v71, v87
	v_fma_f16 v71, v66, 0xbbad, -v91
	v_fma_f16 v93, v94, 0xbbad, -v75
	v_add_f16_e32 v91, v77, v92
	v_add_f16_e32 v92, v64, v65
	v_mul_f16_e32 v77, 0xb482, v90
	v_fma_f16 v64, v66, 0x36a6, -v68
	v_fmac_f16_e32 v75, 0xbbad, v94
	v_fmac_f16_e32 v74, 0x36a6, v94
	v_add_f16_e32 v94, v57, v58
	v_fma_f16 v65, v92, 0xbbad, -v77
	v_mul_f16_e32 v57, 0xb482, v95
	v_add_f16_e32 v70, v64, v70
	v_mul_f16_e32 v64, 0x3853, v90
	v_add_f16_e32 v88, v75, v88
	v_fmamk_f16 v75, v66, 0x36a6, v68
	v_add_f16_e32 v89, v71, v89
	v_add_f16_e32 v96, v74, v47
	;; [unrolled: 1-line block ×3, first 2 shown]
	v_fmamk_f16 v47, v94, 0xbbad, v57
	v_mul_f16_e32 v65, 0x3853, v95
	v_fma_f16 v58, v94, 0xbbad, -v57
	v_fma_f16 v66, v92, 0x3abb, -v64
	v_fmac_f16_e32 v77, 0xbbad, v92
	v_add_f16_e32 v57, v47, v73
	v_fmamk_f16 v68, v94, 0x3abb, v65
	v_add_f16_e32 v47, v58, v67
	v_add_f16_e32 v74, v66, v78
	v_mul_f16_e32 v66, 0xba0c, v90
	v_mul_f16_e32 v67, 0xba0c, v95
	v_add_f16_e32 v72, v77, v69
	v_add_f16_e32 v58, v68, v80
	v_fmac_f16_e32 v64, 0x3abb, v92
	v_fma_f16 v65, v94, 0x3abb, -v65
	v_fma_f16 v68, v92, 0xb93d, -v66
	v_fmamk_f16 v69, v94, 0xb93d, v67
	v_fmac_f16_e32 v66, 0xb93d, v92
	v_add_f16_e32 v86, v93, v86
	v_add_f16_e32 v93, v75, v76
	v_add_f16_e32 v75, v64, v79
	v_add_f16_e32 v64, v65, v81
	v_add_f16_e32 v65, v69, v83
	v_add_f16_e32 v76, v66, v84
	v_fma_f16 v66, v94, 0xb93d, -v67
	v_add_f16_e32 v67, v5, v49
	v_add_f16_e32 v69, v27, v40
	;; [unrolled: 1-line block ×3, first 2 shown]
	v_mul_f16_e32 v68, 0x3b47, v90
	v_mul_f16_e32 v73, 0x3b47, v95
	v_add_f16_e32 v67, v67, v34
	v_add_f16_e32 v69, v69, v31
	v_mul_f16_e32 v82, 0xbbeb, v90
	v_fma_f16 v78, v92, 0x36a6, -v68
	v_fmac_f16_e32 v68, 0x36a6, v92
	v_add_f16_e32 v81, v67, v29
	v_add_f16_e32 v69, v69, v26
	v_fmamk_f16 v80, v94, 0x36a6, v73
	v_add_f16_e32 v79, v78, v86
	v_add_f16_e32 v78, v68, v88
	;; [unrolled: 1-line block ×4, first 2 shown]
	v_fma_f16 v73, v94, 0x36a6, -v73
	v_mul_f16_e32 v81, 0xbbeb, v95
	v_add_f16_e32 v67, v80, v87
	v_add_f16_e32 v83, v68, v19
	v_add_f16_e32 v69, v69, v16
	v_add_f16_e32 v68, v73, v89
	v_fmamk_f16 v73, v94, 0xb08e, v81
	v_fma_f16 v80, v92, 0xb08e, -v82
	v_add_f16_e32 v83, v83, v20
	v_add_f16_e32 v84, v69, v17
	v_fmac_f16_e32 v82, 0xb08e, v92
	v_add_f16_e32 v69, v73, v93
	v_add_f16_e32 v66, v66, v85
	;; [unrolled: 1-line block ×4, first 2 shown]
	v_fma_f16 v85, v94, 0xb08e, -v81
	v_add_f16_e32 v81, v82, v96
	v_sub_f16_e32 v82, v40, v44
	v_add_f16_e32 v73, v73, v30
	v_add_f16_e32 v83, v83, v28
	;; [unrolled: 1-line block ×4, first 2 shown]
	v_sub_f16_e32 v49, v49, v53
	v_add_f16_e32 v73, v73, v36
	v_add_f16_e32 v83, v83, v32
	v_mul_f16_e32 v85, 0xb853, v82
	v_add_f16_e32 v40, v40, v44
	v_mul_f16_e32 v90, 0xbbeb, v82
	v_add_f16_e32 v53, v73, v53
	v_add_f16_e32 v73, v83, v44
	v_mul_f16_e32 v44, 0xbb47, v82
	v_mul_f16_e32 v95, 0xba0c, v82
	;; [unrolled: 1-line block ×4, first 2 shown]
	v_fma_f16 v87, v84, 0x3abb, -v85
	v_fmac_f16_e32 v85, 0x3abb, v84
	v_fma_f16 v88, v84, 0x36a6, -v44
	v_mul_f16_e32 v89, 0xbb47, v49
	v_fmac_f16_e32 v44, 0x36a6, v84
	v_mul_f16_e32 v92, 0xbbeb, v49
	v_fma_f16 v93, v84, 0xb08e, -v90
	v_fmac_f16_e32 v90, 0xb08e, v84
	v_mul_f16_e32 v96, 0xba0c, v49
	v_fma_f16 v97, v84, 0xb93d, -v95
	v_fmac_f16_e32 v95, 0xb93d, v84
	v_fma_f16 v99, v84, 0xbbad, -v82
	v_mul_f16_e32 v49, 0xb482, v49
	v_sub_f16_e32 v100, v31, v32
	v_fmac_f16_e32 v82, 0xbbad, v84
	v_sub_f16_e32 v84, v34, v36
	v_add_f16_e32 v80, v80, v91
	v_fmamk_f16 v83, v40, 0x3abb, v86
	v_fma_f16 v86, v40, 0x3abb, -v86
	v_fmamk_f16 v91, v40, 0x36a6, v89
	v_fma_f16 v89, v40, 0x36a6, -v89
	;; [unrolled: 2-line block ×4, first 2 shown]
	v_fmamk_f16 v101, v40, 0xbbad, v49
	v_add_f16_e32 v34, v34, v36
	v_mul_f16_e32 v36, 0xbb47, v100
	v_fma_f16 v40, v40, 0xbbad, -v49
	v_add_f16_e32 v31, v31, v32
	v_mul_f16_e32 v32, 0xbb47, v84
	v_add_f16_e32 v87, v5, v87
	v_add_f16_e32 v83, v27, v83
	v_add_f16_e32 v85, v5, v85
	v_add_f16_e32 v86, v27, v86
	v_add_f16_e32 v88, v5, v88
	v_add_f16_e32 v91, v27, v91
	v_add_f16_e32 v44, v5, v44
	v_add_f16_e32 v89, v27, v89
	v_add_f16_e32 v93, v5, v93
	v_add_f16_e32 v94, v27, v94
	v_add_f16_e32 v90, v5, v90
	v_add_f16_e32 v92, v27, v92
	v_add_f16_e32 v97, v5, v97
	v_add_f16_e32 v98, v27, v98
	v_add_f16_e32 v95, v5, v95
	v_add_f16_e32 v96, v27, v96
	v_add_f16_e32 v99, v5, v99
	v_add_f16_e32 v49, v27, v101
	v_fma_f16 v101, v34, 0x36a6, -v36
	v_add_f16_e32 v5, v5, v82
	v_add_f16_e32 v27, v27, v40
	v_fmamk_f16 v40, v31, 0x36a6, v32
	v_mul_f16_e32 v82, 0xba0c, v100
	v_fmac_f16_e32 v36, 0x36a6, v34
	v_add_f16_e32 v87, v101, v87
	v_fma_f16 v32, v31, 0x36a6, -v32
	v_add_f16_e32 v40, v40, v83
	v_fma_f16 v83, v34, 0xb93d, -v82
	v_mul_f16_e32 v101, 0xba0c, v84
	v_add_f16_e32 v36, v36, v85
	v_mul_f16_e32 v85, 0x3482, v100
	v_add_f16_e32 v32, v32, v86
	v_add_f16_e32 v83, v83, v88
	v_fmamk_f16 v86, v31, 0xb93d, v101
	v_fmac_f16_e32 v82, 0xb93d, v34
	v_fma_f16 v88, v31, 0xb93d, -v101
	v_fma_f16 v101, v34, 0xbbad, -v85
	v_mul_f16_e32 v102, 0x3482, v84
	v_add_f16_e32 v86, v86, v91
	v_add_f16_e32 v44, v82, v44
	v_add_f16_e32 v82, v88, v89
	v_add_f16_e32 v88, v101, v93
	v_fmamk_f16 v89, v31, 0xbbad, v102
	v_mul_f16_e32 v91, 0x3beb, v100
	v_fmac_f16_e32 v85, 0xbbad, v34
	v_mul_f16_e32 v93, 0x3beb, v84
	v_mul_f16_e32 v100, 0x3853, v100
	v_add_f16_e32 v89, v89, v94
	v_fma_f16 v94, v34, 0xb08e, -v91
	v_add_f16_e32 v85, v85, v90
	v_fmamk_f16 v90, v31, 0xb08e, v93
	v_fmac_f16_e32 v91, 0xb08e, v34
	v_fma_f16 v93, v31, 0xb08e, -v93
	v_add_f16_e32 v94, v94, v97
	v_fma_f16 v97, v34, 0x3abb, -v100
	v_add_f16_e32 v90, v90, v98
	v_mul_f16_e32 v84, 0x3853, v84
	v_add_f16_e32 v91, v91, v95
	v_sub_f16_e32 v95, v26, v28
	v_add_f16_e32 v98, v29, v30
	v_sub_f16_e32 v29, v29, v30
	v_fma_f16 v101, v31, 0xbbad, -v102
	v_add_f16_e32 v93, v93, v96
	v_add_f16_e32 v96, v97, v99
	v_fmamk_f16 v97, v31, 0x3abb, v84
	v_mul_f16_e32 v99, 0xbbeb, v95
	v_fma_f16 v30, v31, 0x3abb, -v84
	v_add_f16_e32 v26, v26, v28
	v_mul_f16_e32 v31, 0xbbeb, v29
	v_fmac_f16_e32 v100, 0x3abb, v34
	v_fma_f16 v28, v98, 0xb08e, -v99
	v_add_f16_e32 v34, v97, v49
	v_add_f16_e32 v27, v30, v27
	v_fmamk_f16 v30, v26, 0xb08e, v31
	v_mul_f16_e32 v49, 0x3482, v95
	v_fma_f16 v31, v26, 0xb08e, -v31
	v_mul_f16_e32 v84, 0x3482, v29
	v_add_f16_e32 v28, v28, v87
	v_add_f16_e32 v30, v30, v40
	v_fma_f16 v40, v98, 0xbbad, -v49
	v_add_f16_e32 v31, v31, v32
	v_fmamk_f16 v32, v26, 0xbbad, v84
	v_mul_f16_e32 v87, 0x3b47, v95
	v_fmac_f16_e32 v49, 0xbbad, v98
	v_add_f16_e32 v40, v40, v83
	v_fma_f16 v83, v26, 0xbbad, -v84
	v_add_f16_e32 v32, v32, v86
	v_fma_f16 v84, v98, 0x36a6, -v87
	v_mul_f16_e32 v86, 0x3b47, v29
	v_add_f16_e32 v92, v101, v92
	v_add_f16_e32 v44, v49, v44
	;; [unrolled: 1-line block ×3, first 2 shown]
	v_mul_f16_e32 v82, 0xb853, v95
	v_add_f16_e32 v83, v84, v88
	v_fmamk_f16 v84, v26, 0x36a6, v86
	v_fma_f16 v86, v26, 0x36a6, -v86
	v_mul_f16_e32 v97, 0xb853, v29
	v_fmac_f16_e32 v87, 0x36a6, v98
	v_fma_f16 v88, v98, 0x3abb, -v82
	v_fmac_f16_e32 v82, 0x3abb, v98
	v_add_f16_e32 v86, v86, v92
	v_fma_f16 v92, v26, 0x3abb, -v97
	v_add_f16_e32 v84, v84, v89
	v_add_f16_e32 v85, v87, v85
	;; [unrolled: 1-line block ×3, first 2 shown]
	v_fmamk_f16 v88, v26, 0x3abb, v97
	v_mul_f16_e32 v89, 0xba0c, v95
	v_mul_f16_e32 v29, 0xba0c, v29
	v_add_f16_e32 v82, v82, v91
	v_add_f16_e32 v91, v92, v93
	v_sub_f16_e32 v92, v21, v22
	v_add_f16_e32 v93, v24, v25
	v_sub_f16_e32 v24, v24, v25
	v_add_f16_e32 v5, v100, v5
	v_add_f16_e32 v88, v88, v90
	v_fma_f16 v90, v98, 0xb93d, -v89
	v_fmamk_f16 v94, v26, 0xb93d, v29
	v_mul_f16_e32 v25, 0xba0c, v92
	v_fmac_f16_e32 v89, 0xb93d, v98
	v_fma_f16 v26, v26, 0xb93d, -v29
	v_add_f16_e32 v21, v21, v22
	v_mul_f16_e32 v22, 0xba0c, v24
	v_fmac_f16_e32 v99, 0xb08e, v98
	v_fma_f16 v29, v93, 0xb93d, -v25
	v_add_f16_e32 v5, v89, v5
	v_add_f16_e32 v26, v26, v27
	v_mul_f16_e32 v27, 0x3beb, v92
	v_fmamk_f16 v89, v21, 0xb93d, v22
	v_add_f16_e32 v36, v99, v36
	v_add_f16_e32 v28, v29, v28
	v_fmac_f16_e32 v25, 0xb93d, v93
	v_fma_f16 v22, v21, 0xb93d, -v22
	v_fma_f16 v29, v93, 0xb08e, -v27
	v_add_f16_e32 v30, v89, v30
	v_mul_f16_e32 v89, 0x3beb, v24
	v_add_f16_e32 v25, v25, v36
	v_add_f16_e32 v22, v22, v31
	;; [unrolled: 1-line block ×3, first 2 shown]
	v_mul_f16_e32 v31, 0xb853, v92
	v_fmamk_f16 v36, v21, 0xb08e, v89
	v_fma_f16 v40, v21, 0xb08e, -v89
	v_mul_f16_e32 v89, 0xb853, v24
	v_add_f16_e32 v34, v94, v34
	v_fmac_f16_e32 v27, 0xb08e, v93
	v_fma_f16 v94, v93, 0x3abb, -v31
	v_add_f16_e32 v32, v36, v32
	v_add_f16_e32 v36, v40, v49
	v_fmamk_f16 v40, v21, 0x3abb, v89
	v_mul_f16_e32 v49, 0xb482, v92
	v_fmac_f16_e32 v31, 0x3abb, v93
	v_add_f16_e32 v27, v27, v44
	v_add_f16_e32 v44, v94, v83
	v_fma_f16 v83, v21, 0x3abb, -v89
	v_add_f16_e32 v40, v40, v84
	v_mul_f16_e32 v84, 0xb482, v24
	v_fma_f16 v89, v93, 0xbbad, -v49
	v_add_f16_e32 v31, v31, v85
	v_mul_f16_e32 v85, 0x3b47, v92
	v_add_f16_e32 v90, v90, v96
	v_add_f16_e32 v83, v83, v86
	v_fmamk_f16 v86, v21, 0xbbad, v84
	v_add_f16_e32 v87, v89, v87
	v_fmac_f16_e32 v49, 0xbbad, v93
	v_fma_f16 v84, v21, 0xbbad, -v84
	v_fma_f16 v89, v93, 0x36a6, -v85
	v_mul_f16_e32 v24, 0x3b47, v24
	v_add_f16_e32 v86, v86, v88
	v_add_f16_e32 v49, v49, v82
	;; [unrolled: 1-line block ×4, first 2 shown]
	v_sub_f16_e32 v90, v19, v20
	v_sub_f16_e32 v88, v16, v17
	v_fmamk_f16 v89, v21, 0x36a6, v24
	v_fmac_f16_e32 v85, 0x36a6, v93
	v_fma_f16 v21, v21, 0x36a6, -v24
	v_add_f16_e32 v16, v16, v17
	v_mul_f16_e32 v17, 0xb482, v90
	v_add_f16_e32 v19, v19, v20
	v_mul_f16_e32 v20, 0xb482, v88
	v_add_f16_e32 v5, v85, v5
	v_add_f16_e32 v21, v21, v26
	v_fmamk_f16 v26, v16, 0xbbad, v17
	v_mul_f16_e32 v85, 0x3853, v88
	v_add_f16_e32 v24, v89, v34
	v_fma_f16 v34, v19, 0xbbad, -v20
	v_fmac_f16_e32 v20, 0xbbad, v19
	v_fma_f16 v17, v16, 0xbbad, -v17
	v_add_f16_e32 v89, v26, v30
	v_fma_f16 v26, v19, 0x3abb, -v85
	v_mul_f16_e32 v30, 0x3853, v90
	v_add_f16_e32 v20, v20, v25
	v_add_f16_e32 v91, v17, v22
	v_mul_f16_e32 v17, 0xba0c, v88
	v_add_f16_e32 v22, v26, v29
	v_fmamk_f16 v25, v16, 0x3abb, v30
	v_fmac_f16_e32 v85, 0x3abb, v19
	v_fma_f16 v26, v16, 0x3abb, -v30
	v_mul_f16_e32 v30, 0xba0c, v90
	v_fma_f16 v29, v19, 0xb93d, -v17
	v_add_f16_e32 v92, v25, v32
	v_add_f16_e32 v25, v85, v27
	v_fmac_f16_e32 v17, 0xb93d, v19
	v_fmamk_f16 v27, v16, 0xb93d, v30
	v_fma_f16 v30, v16, 0xb93d, -v30
	v_mul_f16_e32 v32, 0x3b47, v90
	v_add_f16_e32 v85, v26, v36
	v_add_f16_e32 v26, v29, v44
	v_mul_f16_e32 v29, 0x3b47, v88
	v_add_f16_e32 v17, v17, v31
	v_add_f16_e32 v83, v30, v83
	v_fmamk_f16 v30, v16, 0x36a6, v32
	v_mul_f16_e32 v31, 0xbbeb, v88
	v_add_f16_e32 v28, v34, v28
	v_mul_f16_e32 v34, 0xbbeb, v90
	v_add_f16_e32 v93, v27, v40
	v_fma_f16 v27, v19, 0x36a6, -v29
	v_fmac_f16_e32 v29, 0x36a6, v19
	v_add_f16_e32 v86, v30, v86
	v_fma_f16 v30, v16, 0x36a6, -v32
	v_fma_f16 v32, v19, 0xb08e, -v31
	v_fmamk_f16 v36, v16, 0xb08e, v34
	v_fmac_f16_e32 v31, 0xb08e, v19
	v_fma_f16 v16, v16, 0xb08e, -v34
	v_add_f16_e32 v27, v27, v87
	v_add_f16_e32 v29, v29, v49
	;; [unrolled: 1-line block ×7, first 2 shown]
	ds_write_b16 v1, v23
	ds_write_b16 v1, v46 offset:102
	ds_write_b16 v1, v51 offset:204
	;; [unrolled: 1-line block ×32, first 2 shown]
	s_waitcnt lgkmcnt(0)
	s_barrier
	buffer_gl0_inv
	ds_read_u16 v24, v1 offset:1326
	ds_read_u16 v28, v1 offset:1428
	;; [unrolled: 1-line block ×3, first 2 shown]
	ds_read_u16 v17, v1
	ds_read_u16 v19, v1 offset:102
	ds_read_u16 v20, v1 offset:204
	;; [unrolled: 1-line block ×29, first 2 shown]
	s_waitcnt lgkmcnt(0)
	s_barrier
	buffer_gl0_inv
	ds_write_b16 v1, v18
	ds_write_b16 v1, v35 offset:102
	ds_write_b16 v1, v37 offset:204
	ds_write_b16 v1, v39 offset:306
	ds_write_b16 v1, v42 offset:408
	ds_write_b16 v1, v45 offset:510
	ds_write_b16 v1, v52 offset:612
	ds_write_b16 v1, v43 offset:714
	ds_write_b16 v1, v41 offset:816
	ds_write_b16 v1, v38 offset:918
	ds_write_b16 v1, v33 offset:1020
	ds_write_b16 v1, v50 offset:1122
	ds_write_b16 v1, v57 offset:1224
	ds_write_b16 v1, v58 offset:1326
	ds_write_b16 v1, v65 offset:1428
	ds_write_b16 v1, v67 offset:1530
	ds_write_b16 v1, v69 offset:1632
	ds_write_b16 v1, v70 offset:1734
	ds_write_b16 v1, v68 offset:1836
	ds_write_b16 v1, v66 offset:1938
	ds_write_b16 v1, v64 offset:2040
	ds_write_b16 v1, v47 offset:2142
	ds_write_b16 v4, v73 offset:2244
	ds_write_b16 v4, v89 offset:2346
	ds_write_b16 v4, v92 offset:2448
	ds_write_b16 v4, v93 offset:2550
	ds_write_b16 v4, v86 offset:2652
	ds_write_b16 v4, v84 offset:2754
	ds_write_b16 v4, v87 offset:2856
	ds_write_b16 v4, v82 offset:2958
	ds_write_b16 v4, v83 offset:3060
	ds_write_b16 v4, v85 offset:3162
	ds_write_b16 v4, v91 offset:3264
	s_waitcnt lgkmcnt(0)
	s_barrier
	buffer_gl0_inv
	s_and_saveexec_b32 s0, vcc_lo
	s_cbranch_execz .LBB0_19
; %bb.18:
	v_lshlrev_b32_e32 v4, 1, v8
	v_mov_b32_e32 v5, 0
	v_lshlrev_b64 v[37:38], 2, v[4:5]
	v_lshlrev_b32_e32 v4, 1, v6
	v_lshlrev_b64 v[41:42], 2, v[4:5]
	v_add_co_u32 v18, vcc_lo, s8, v37
	v_add_co_ci_u32_e32 v33, vcc_lo, s9, v38, vcc_lo
	v_lshlrev_b32_e32 v4, 1, v12
	v_add_co_u32 v37, vcc_lo, 0x800, v18
	v_add_co_ci_u32_e32 v38, vcc_lo, 0, v33, vcc_lo
	v_add_co_u32 v12, vcc_lo, s8, v41
	v_add_co_ci_u32_e32 v18, vcc_lo, s9, v42, vcc_lo
	v_lshlrev_b64 v[57:58], 2, v[4:5]
	v_add_co_u32 v41, vcc_lo, 0x800, v12
	v_lshlrev_b32_e32 v4, 1, v15
	v_add_co_ci_u32_e32 v42, vcc_lo, 0, v18, vcc_lo
	v_add_co_u32 v12, vcc_lo, s8, v57
	v_add_co_ci_u32_e32 v18, vcc_lo, s9, v58, vcc_lo
	v_lshlrev_b64 v[64:65], 2, v[4:5]
	v_add_co_u32 v57, vcc_lo, 0x800, v12
	v_add_co_ci_u32_e32 v58, vcc_lo, 0, v18, vcc_lo
	s_clause 0x1
	global_load_dwordx2 v[37:38], v[37:38], off offset:128
	global_load_dwordx2 v[41:42], v[41:42], off offset:128
	v_add_co_u32 v4, vcc_lo, s8, v64
	v_add_co_ci_u32_e32 v12, vcc_lo, s9, v65, vcc_lo
	global_load_dwordx2 v[57:58], v[57:58], off offset:128
	v_add_co_u32 v64, vcc_lo, 0x800, v4
	v_add_co_ci_u32_e32 v65, vcc_lo, 0, v12, vcc_lo
	v_lshlrev_b32_e32 v4, 1, v14
	global_load_dwordx2 v[14:15], v[64:65], off offset:128
	v_lshlrev_b64 v[64:65], 2, v[4:5]
	v_add_co_u32 v4, vcc_lo, s8, v64
	v_add_co_ci_u32_e32 v12, vcc_lo, s9, v65, vcc_lo
	v_add_co_u32 v64, vcc_lo, 0x800, v4
	v_lshlrev_b32_e32 v4, 1, v13
	v_add_co_ci_u32_e32 v65, vcc_lo, 0, v12, vcc_lo
	v_lshlrev_b64 v[12:13], 2, v[4:5]
	global_load_dwordx2 v[64:65], v[64:65], off offset:128
	v_add_co_u32 v4, vcc_lo, s8, v12
	v_add_co_ci_u32_e32 v13, vcc_lo, s9, v13, vcc_lo
	v_add_co_u32 v12, vcc_lo, 0x800, v4
	v_lshlrev_b32_e32 v4, 1, v11
	v_add_co_ci_u32_e32 v13, vcc_lo, 0, v13, vcc_lo
	v_lshlrev_b64 v[66:67], 2, v[4:5]
	global_load_dwordx2 v[12:13], v[12:13], off offset:128
	;; [unrolled: 7-line block ×6, first 2 shown]
	v_add_co_u32 v4, vcc_lo, s8, v72
	v_add_co_ci_u32_e32 v7, vcc_lo, s9, v73, vcc_lo
	v_add_co_u32 v72, vcc_lo, 0x800, v4
	v_add_co_ci_u32_e32 v73, vcc_lo, 0, v7, vcc_lo
	v_add_co_u32 v2, vcc_lo, s2, v2
	v_add_co_ci_u32_e32 v3, vcc_lo, s3, v3, vcc_lo
	global_load_dwordx2 v[72:73], v[72:73], off offset:128
	ds_read_u16 v4, v1 offset:3264
	ds_read_u16 v7, v1 offset:1530
	;; [unrolled: 1-line block ×32, first 2 shown]
	ds_read_u16 v94, v1
	v_mov_b32_e32 v1, v5
	v_lshlrev_b64 v[0:1], 2, v[0:1]
	v_add_co_u32 v0, vcc_lo, v2, v0
	v_add_co_ci_u32_e32 v1, vcc_lo, v3, v1, vcc_lo
	v_add_co_u32 v2, vcc_lo, 0x800, v0
	v_add_co_ci_u32_e32 v3, vcc_lo, 0, v1, vcc_lo
	s_waitcnt vmcnt(10)
	v_lshrrev_b32_e32 v95, 16, v37
	v_lshrrev_b32_e32 v96, 16, v38
	s_waitcnt lgkmcnt(21)
	v_mul_f16_e32 v97, v37, v52
	v_mul_f16_e32 v98, v38, v4
	s_waitcnt vmcnt(9) lgkmcnt(15)
	v_mul_f16_e32 v99, v42, v79
	v_mul_f16_e32 v52, v95, v52
	;; [unrolled: 1-line block ×3, first 2 shown]
	v_fmac_f16_e32 v97, v62, v95
	v_fmac_f16_e32 v98, v63, v96
	v_lshrrev_b32_e32 v95, 16, v41
	v_lshrrev_b32_e32 v96, 16, v42
	v_mul_f16_e32 v100, v41, v74
	v_fma_f16 v37, v62, v37, -v52
	v_fma_f16 v4, v63, v38, -v4
	v_add_f16_e32 v38, v97, v98
	v_add_f16_e32 v52, v97, v39
	v_sub_f16_e32 v62, v97, v98
	v_fmac_f16_e32 v99, v61, v96
	v_fmac_f16_e32 v100, v60, v95
	v_mul_f16_e32 v63, v95, v74
	v_mul_f16_e32 v74, v96, v79
	s_waitcnt vmcnt(8)
	v_lshrrev_b32_e32 v79, 16, v57
	v_lshrrev_b32_e32 v95, 16, v58
	v_mul_f16_e32 v96, v57, v75
	s_waitcnt lgkmcnt(14)
	v_mul_f16_e32 v97, v58, v80
	v_sub_f16_e32 v101, v37, v4
	v_fma_f16 v38, -0.5, v38, v39
	v_add_f16_e32 v39, v98, v52
	v_add_f16_e32 v52, v37, v4
	;; [unrolled: 1-line block ×4, first 2 shown]
	v_fma_f16 v41, v60, v41, -v63
	v_fma_f16 v42, v61, v42, -v74
	v_add_f16_e32 v60, v99, v100
	v_mul_f16_e32 v63, v79, v75
	v_mul_f16_e32 v74, v95, v80
	v_fmac_f16_e32 v96, v55, v79
	v_fmac_f16_e32 v97, v56, v95
	s_waitcnt vmcnt(7)
	v_lshrrev_b32_e32 v75, 16, v14
	v_lshrrev_b32_e32 v79, 16, v15
	v_mul_f16_e32 v80, v14, v76
	s_waitcnt lgkmcnt(13)
	v_mul_f16_e32 v95, v15, v81
	v_fma_f16 v52, -0.5, v52, v59
	v_add_f16_e32 v37, v37, v4
	v_add_f16_e32 v59, v99, v98
	;; [unrolled: 1-line block ×3, first 2 shown]
	v_sub_f16_e32 v98, v41, v42
	v_fmac_f16_e32 v43, -0.5, v60
	v_add_f16_e32 v41, v42, v41
	v_fma_f16 v55, v55, v57, -v63
	v_fma_f16 v56, v56, v58, -v74
	v_add_f16_e32 v57, v96, v97
	v_add_f16_e32 v60, v96, v45
	v_mul_f16_e32 v63, v75, v76
	v_mul_f16_e32 v74, v79, v81
	v_fmac_f16_e32 v80, v53, v75
	v_fmac_f16_e32 v95, v54, v79
	s_waitcnt vmcnt(6)
	v_lshrrev_b32_e32 v75, 16, v64
	v_lshrrev_b32_e32 v76, 16, v65
	v_mul_f16_e32 v79, v64, v77
	s_waitcnt lgkmcnt(12)
	v_mul_f16_e32 v81, v65, v82
	v_sub_f16_e32 v61, v100, v99
	v_add_f16_e32 v42, v42, v4
	v_fmac_f16_e32 v16, -0.5, v41
	v_sub_f16_e32 v4, v55, v56
	v_fma_f16 v41, -0.5, v57, v45
	v_add_f16_e32 v45, v55, v56
	v_add_f16_e32 v57, v97, v60
	v_add_f16_e32 v55, v49, v55
	v_fma_f16 v14, v53, v14, -v63
	v_fma_f16 v15, v54, v15, -v74
	v_add_f16_e32 v53, v80, v95
	v_sub_f16_e32 v54, v80, v95
	s_waitcnt lgkmcnt(7)
	v_add_f16_e32 v60, v80, v87
	v_mul_f16_e32 v63, v75, v77
	v_mul_f16_e32 v74, v76, v82
	v_fmac_f16_e32 v79, v48, v75
	v_fmac_f16_e32 v81, v51, v76
	s_waitcnt vmcnt(5)
	v_lshrrev_b32_e32 v75, 16, v12
	v_lshrrev_b32_e32 v76, 16, v13
	v_mul_f16_e32 v77, v12, v78
	v_mul_f16_e32 v80, v13, v83
	v_sub_f16_e32 v58, v96, v97
	v_fmamk_f16 v82, v61, 0xbaee, v16
	v_fmac_f16_e32 v16, 0x3aee, v61
	v_fmamk_f16 v61, v4, 0x3aee, v41
	v_fma_f16 v45, -0.5, v45, v49
	v_fmac_f16_e32 v41, 0xbaee, v4
	v_add_f16_e32 v49, v55, v56
	v_sub_f16_e32 v4, v14, v15
	v_fma_f16 v53, -0.5, v53, v87
	v_add_f16_e32 v55, v14, v15
	v_add_f16_e32 v56, v95, v60
	v_add_f16_e32 v14, v44, v14
	v_fma_f16 v48, v48, v64, -v63
	v_fma_f16 v51, v51, v65, -v74
	v_add_f16_e32 v60, v79, v81
	v_sub_f16_e32 v63, v79, v81
	s_waitcnt lgkmcnt(6)
	v_add_f16_e32 v64, v79, v88
	v_mul_f16_e32 v65, v75, v78
	v_mul_f16_e32 v74, v76, v83
	v_fmac_f16_e32 v77, v40, v75
	v_fmac_f16_e32 v80, v46, v76
	s_waitcnt vmcnt(4)
	v_lshrrev_b32_e32 v75, 16, v66
	v_lshrrev_b32_e32 v76, 16, v67
	v_mul_f16_e32 v78, v66, v7
	v_mul_f16_e32 v79, v67, v84
	v_fmamk_f16 v83, v58, 0xbaee, v45
	v_fmac_f16_e32 v45, 0x3aee, v58
	v_fmamk_f16 v58, v4, 0x3aee, v53
	v_fma_f16 v44, -0.5, v55, v44
	v_fmac_f16_e32 v53, 0xbaee, v4
	v_add_f16_e32 v4, v14, v15
	v_sub_f16_e32 v14, v48, v51
	v_fma_f16 v15, -0.5, v60, v88
	v_add_f16_e32 v55, v48, v51
	v_add_f16_e32 v60, v81, v64
	v_add_f16_e32 v48, v34, v48
	v_fma_f16 v12, v40, v12, -v65
	v_fma_f16 v13, v46, v13, -v74
	v_add_f16_e32 v40, v77, v80
	v_sub_f16_e32 v46, v77, v80
	s_waitcnt lgkmcnt(5)
	v_add_f16_e32 v64, v77, v89
	v_mul_f16_e32 v7, v75, v7
	v_mul_f16_e32 v65, v76, v84
	v_fmac_f16_e32 v78, v31, v75
	v_fmac_f16_e32 v79, v36, v76
	s_waitcnt vmcnt(3)
	v_lshrrev_b32_e32 v74, 16, v10
	v_lshrrev_b32_e32 v75, 16, v11
	v_mul_f16_e32 v76, v10, v9
	v_mul_f16_e32 v77, v11, v85
	;; [unrolled: 26-line block ×4, first 2 shown]
	v_fmamk_f16 v79, v46, 0xbaee, v30
	v_fmac_f16_e32 v30, 0x3aee, v46
	v_fmamk_f16 v46, v13, 0x3aee, v36
	v_fma_f16 v27, -0.5, v48, v27
	v_fmac_f16_e32 v36, 0xbaee, v13
	v_add_f16_e32 v7, v7, v31
	v_sub_f16_e32 v13, v9, v10
	v_fma_f16 v11, -0.5, v11, v91
	v_add_f16_e32 v31, v9, v10
	v_add_f16_e32 v9, v21, v9
	v_fma_f16 v18, v24, v68, -v18
	v_fma_f16 v24, v29, v69, -v65
	v_mul_f16_e32 v33, v66, v33
	v_mul_f16_e32 v47, v67, v47
	v_fmac_f16_e32 v74, v25, v66
	v_fmac_f16_e32 v76, v26, v67
	s_waitcnt vmcnt(0)
	v_lshrrev_b32_e32 v66, 16, v72
	v_lshrrev_b32_e32 v67, 16, v73
	v_add_f16_e32 v29, v75, v78
	v_sub_f16_e32 v48, v75, v78
	s_waitcnt lgkmcnt(2)
	v_add_f16_e32 v65, v75, v92
	v_mul_f16_e32 v68, v72, v35
	v_mul_f16_e32 v69, v73, v50
	v_fmamk_f16 v75, v64, 0xbaee, v27
	v_fmac_f16_e32 v27, 0x3aee, v64
	v_fmamk_f16 v64, v13, 0x3aee, v11
	v_fmac_f16_e32 v11, 0xbaee, v13
	v_add_f16_e32 v13, v9, v10
	v_add_f16_e32 v10, v18, v24
	v_fma_f16 v25, v25, v70, -v33
	v_fma_f16 v26, v26, v71, -v47
	v_mul_f16_e32 v35, v66, v35
	v_mul_f16_e32 v50, v67, v50
	v_fma_f16 v21, -0.5, v31, v21
	v_sub_f16_e32 v9, v18, v24
	v_fma_f16 v29, -0.5, v29, v92
	v_add_f16_e32 v18, v20, v18
	v_add_f16_e32 v33, v74, v76
	v_fmac_f16_e32 v68, v22, v66
	v_fmac_f16_e32 v69, v23, v67
	v_fma_f16 v20, -0.5, v10, v20
	v_add_f16_e32 v10, v25, v26
	v_fma_f16 v22, v22, v72, -v35
	v_fma_f16 v23, v23, v73, -v50
	v_add_f16_e32 v31, v78, v65
	s_waitcnt lgkmcnt(1)
	v_add_f16_e32 v65, v74, v93
	v_fmamk_f16 v66, v28, 0xbaee, v21
	v_fmac_f16_e32 v21, 0x3aee, v28
	v_fmamk_f16 v28, v9, 0x3aee, v29
	v_fmac_f16_e32 v29, 0xbaee, v9
	v_add_f16_e32 v18, v18, v24
	v_sub_f16_e32 v9, v25, v26
	v_fma_f16 v24, -0.5, v33, v93
	v_add_f16_e32 v25, v19, v25
	v_add_f16_e32 v35, v68, v69
	v_fma_f16 v19, -0.5, v10, v19
	v_add_f16_e32 v10, v22, v23
	v_sub_f16_e32 v47, v74, v76
	v_add_f16_e32 v33, v76, v65
	v_sub_f16_e32 v50, v68, v69
	s_waitcnt lgkmcnt(0)
	v_add_f16_e32 v65, v68, v94
	v_fmamk_f16 v67, v48, 0xbaee, v20
	v_fmac_f16_e32 v20, 0x3aee, v48
	v_fmamk_f16 v48, v9, 0x3aee, v24
	v_fmac_f16_e32 v24, 0xbaee, v9
	v_sub_f16_e32 v9, v22, v23
	v_fma_f16 v35, -0.5, v35, v94
	v_fma_f16 v10, -0.5, v10, v17
	v_add_f16_e32 v17, v17, v22
	v_add_f16_e32 v25, v25, v26
	v_fmamk_f16 v26, v47, 0xbaee, v19
	v_fmac_f16_e32 v19, 0x3aee, v47
	v_fmamk_f16 v47, v9, 0x3aee, v35
	v_fmac_f16_e32 v35, 0xbaee, v9
	;; [unrolled: 2-line block ×3, first 2 shown]
	v_add_f16_e32 v50, v69, v65
	v_add_f16_e32 v17, v17, v23
	v_pack_b32_f16 v25, v25, v33
	v_pack_b32_f16 v23, v9, v47
	v_add_co_u32 v9, vcc_lo, 0x1000, v0
	v_pack_b32_f16 v17, v17, v50
	v_pack_b32_f16 v22, v10, v35
	v_add_co_ci_u32_e32 v10, vcc_lo, 0, v1, vcc_lo
	v_add_f16_e32 v32, v77, v32
	v_pack_b32_f16 v19, v19, v24
	global_store_dword v[0:1], v17, off
	global_store_dword v[2:3], v22, off offset:196
	global_store_dword v[9:10], v23, off offset:392
	;; [unrolled: 1-line block ×4, first 2 shown]
	v_pack_b32_f16 v17, v26, v48
	v_pack_b32_f16 v18, v18, v31
	;; [unrolled: 1-line block ×5, first 2 shown]
	global_store_dword v[9:10], v17, off offset:596
	global_store_dword v[0:1], v18, off offset:408
	;; [unrolled: 1-line block ×5, first 2 shown]
	v_mul_hi_u32 v18, 0xd347a4bd, v6
	v_pack_b32_f16 v11, v21, v11
	v_pack_b32_f16 v13, v66, v64
	;; [unrolled: 1-line block ×4, first 2 shown]
	global_store_dword v[2:3], v11, off offset:808
	global_store_dword v[9:10], v13, off offset:1004
	;; [unrolled: 1-line block ×4, first 2 shown]
	v_pack_b32_f16 v7, v75, v46
	v_sub_nc_u32_e32 v6, v6, v18
	v_pack_b32_f16 v13, v79, v63
	v_pack_b32_f16 v11, v12, v55
	;; [unrolled: 1-line block ×3, first 2 shown]
	global_store_dword v[9:10], v7, off offset:1208
	global_store_dword v[0:1], v11, off offset:1020
	;; [unrolled: 1-line block ×3, first 2 shown]
	v_lshrrev_b32_e32 v6, 1, v6
	global_store_dword v[9:10], v13, off offset:1412
	v_mul_hi_u32 v13, 0xd347a4bd, v8
	v_pack_b32_f16 v7, v14, v60
	v_pack_b32_f16 v11, v34, v15
	v_add_nc_u32_e32 v6, v6, v18
	v_pack_b32_f16 v12, v80, v54
	global_store_dword v[0:1], v7, off offset:1224
	global_store_dword v[2:3], v11, off offset:1420
	;; [unrolled: 1-line block ×3, first 2 shown]
	v_lshrrev_b32_e32 v6, 9, v6
	v_sub_nc_u32_e32 v8, v8, v13
	v_pack_b32_f16 v7, v4, v56
	v_pack_b32_f16 v11, v44, v53
	;; [unrolled: 1-line block ×3, first 2 shown]
	v_mul_u32_u24_e32 v4, 0x462, v6
	v_lshrrev_b32_e32 v8, 1, v8
	global_store_dword v[0:1], v7, off offset:1428
	global_store_dword v[2:3], v11, off offset:1624
	;; [unrolled: 1-line block ×3, first 2 shown]
	v_pack_b32_f16 v11, v45, v41
	v_pack_b32_f16 v12, v83, v61
	v_lshlrev_b64 v[6:7], 2, v[4:5]
	v_pack_b32_f16 v4, v49, v57
	v_add_nc_u32_e32 v8, v8, v13
	v_pack_b32_f16 v13, v42, v59
	v_fmamk_f16 v96, v62, 0xbaee, v52
	v_fmac_f16_e32 v52, 0x3aee, v62
	global_store_dword v[0:1], v4, off offset:1632
	v_lshrrev_b32_e32 v4, 9, v8
	v_add_co_u32 v6, vcc_lo, v0, v6
	v_add_co_ci_u32_e32 v7, vcc_lo, v1, v7, vcc_lo
	v_mul_u32_u24_e32 v4, 0x462, v4
	global_store_dword v[2:3], v11, off offset:1828
	global_store_dword v[9:10], v12, off offset:2024
	;; [unrolled: 1-line block ×3, first 2 shown]
	v_add_co_u32 v2, vcc_lo, 0x800, v6
	v_add_co_ci_u32_e32 v3, vcc_lo, 0, v7, vcc_lo
	v_lshlrev_b64 v[4:5], 2, v[4:5]
	v_add_co_u32 v6, vcc_lo, 0x1800, v6
	v_add_co_ci_u32_e32 v7, vcc_lo, 0, v7, vcc_lo
	v_fmamk_f16 v62, v98, 0x3aee, v43
	v_add_co_u32 v0, vcc_lo, v0, v4
	v_fmac_f16_e32 v43, 0xbaee, v98
	v_add_co_ci_u32_e32 v1, vcc_lo, v1, v5, vcc_lo
	v_fmamk_f16 v100, v101, 0x3aee, v38
	v_fmac_f16_e32 v38, 0xbaee, v101
	v_add_co_u32 v4, vcc_lo, 0x1000, v0
	v_pack_b32_f16 v10, v16, v43
	v_pack_b32_f16 v11, v82, v62
	v_add_co_ci_u32_e32 v5, vcc_lo, 0, v1, vcc_lo
	v_pack_b32_f16 v12, v37, v39
	v_add_co_u32 v8, vcc_lo, 0x1800, v0
	v_pack_b32_f16 v13, v52, v38
	v_pack_b32_f16 v14, v96, v100
	v_add_co_ci_u32_e32 v9, vcc_lo, 0, v1, vcc_lo
	global_store_dword v[2:3], v10, off offset:2032
	global_store_dword v[6:7], v11, off offset:180
	;; [unrolled: 1-line block ×5, first 2 shown]
.LBB0_19:
	s_endpgm
	.section	.rodata,"a",@progbits
	.p2align	6, 0x0
	.amdhsa_kernel fft_rtc_fwd_len1683_factors_17_3_11_3_wgs_51_tpt_51_halfLds_half_ip_CI_unitstride_sbrr_dirReg
		.amdhsa_group_segment_fixed_size 0
		.amdhsa_private_segment_fixed_size 0
		.amdhsa_kernarg_size 88
		.amdhsa_user_sgpr_count 6
		.amdhsa_user_sgpr_private_segment_buffer 1
		.amdhsa_user_sgpr_dispatch_ptr 0
		.amdhsa_user_sgpr_queue_ptr 0
		.amdhsa_user_sgpr_kernarg_segment_ptr 1
		.amdhsa_user_sgpr_dispatch_id 0
		.amdhsa_user_sgpr_flat_scratch_init 0
		.amdhsa_user_sgpr_private_segment_size 0
		.amdhsa_wavefront_size32 1
		.amdhsa_uses_dynamic_stack 0
		.amdhsa_system_sgpr_private_segment_wavefront_offset 0
		.amdhsa_system_sgpr_workgroup_id_x 1
		.amdhsa_system_sgpr_workgroup_id_y 0
		.amdhsa_system_sgpr_workgroup_id_z 0
		.amdhsa_system_sgpr_workgroup_info 0
		.amdhsa_system_vgpr_workitem_id 0
		.amdhsa_next_free_vgpr 133
		.amdhsa_next_free_sgpr 21
		.amdhsa_reserve_vcc 1
		.amdhsa_reserve_flat_scratch 0
		.amdhsa_float_round_mode_32 0
		.amdhsa_float_round_mode_16_64 0
		.amdhsa_float_denorm_mode_32 3
		.amdhsa_float_denorm_mode_16_64 3
		.amdhsa_dx10_clamp 1
		.amdhsa_ieee_mode 1
		.amdhsa_fp16_overflow 0
		.amdhsa_workgroup_processor_mode 1
		.amdhsa_memory_ordered 1
		.amdhsa_forward_progress 0
		.amdhsa_shared_vgpr_count 0
		.amdhsa_exception_fp_ieee_invalid_op 0
		.amdhsa_exception_fp_denorm_src 0
		.amdhsa_exception_fp_ieee_div_zero 0
		.amdhsa_exception_fp_ieee_overflow 0
		.amdhsa_exception_fp_ieee_underflow 0
		.amdhsa_exception_fp_ieee_inexact 0
		.amdhsa_exception_int_div_zero 0
	.end_amdhsa_kernel
	.text
.Lfunc_end0:
	.size	fft_rtc_fwd_len1683_factors_17_3_11_3_wgs_51_tpt_51_halfLds_half_ip_CI_unitstride_sbrr_dirReg, .Lfunc_end0-fft_rtc_fwd_len1683_factors_17_3_11_3_wgs_51_tpt_51_halfLds_half_ip_CI_unitstride_sbrr_dirReg
                                        ; -- End function
	.section	.AMDGPU.csdata,"",@progbits
; Kernel info:
; codeLenInByte = 24164
; NumSgprs: 23
; NumVgprs: 133
; ScratchSize: 0
; MemoryBound: 0
; FloatMode: 240
; IeeeMode: 1
; LDSByteSize: 0 bytes/workgroup (compile time only)
; SGPRBlocks: 2
; VGPRBlocks: 16
; NumSGPRsForWavesPerEU: 23
; NumVGPRsForWavesPerEU: 133
; Occupancy: 7
; WaveLimiterHint : 1
; COMPUTE_PGM_RSRC2:SCRATCH_EN: 0
; COMPUTE_PGM_RSRC2:USER_SGPR: 6
; COMPUTE_PGM_RSRC2:TRAP_HANDLER: 0
; COMPUTE_PGM_RSRC2:TGID_X_EN: 1
; COMPUTE_PGM_RSRC2:TGID_Y_EN: 0
; COMPUTE_PGM_RSRC2:TGID_Z_EN: 0
; COMPUTE_PGM_RSRC2:TIDIG_COMP_CNT: 0
	.text
	.p2alignl 6, 3214868480
	.fill 48, 4, 3214868480
	.type	__hip_cuid_f82b8e3db8170edd,@object ; @__hip_cuid_f82b8e3db8170edd
	.section	.bss,"aw",@nobits
	.globl	__hip_cuid_f82b8e3db8170edd
__hip_cuid_f82b8e3db8170edd:
	.byte	0                               ; 0x0
	.size	__hip_cuid_f82b8e3db8170edd, 1

	.ident	"AMD clang version 19.0.0git (https://github.com/RadeonOpenCompute/llvm-project roc-6.4.0 25133 c7fe45cf4b819c5991fe208aaa96edf142730f1d)"
	.section	".note.GNU-stack","",@progbits
	.addrsig
	.addrsig_sym __hip_cuid_f82b8e3db8170edd
	.amdgpu_metadata
---
amdhsa.kernels:
  - .args:
      - .actual_access:  read_only
        .address_space:  global
        .offset:         0
        .size:           8
        .value_kind:     global_buffer
      - .offset:         8
        .size:           8
        .value_kind:     by_value
      - .actual_access:  read_only
        .address_space:  global
        .offset:         16
        .size:           8
        .value_kind:     global_buffer
      - .actual_access:  read_only
        .address_space:  global
        .offset:         24
        .size:           8
        .value_kind:     global_buffer
      - .offset:         32
        .size:           8
        .value_kind:     by_value
      - .actual_access:  read_only
        .address_space:  global
        .offset:         40
        .size:           8
        .value_kind:     global_buffer
      - .actual_access:  read_only
        .address_space:  global
        .offset:         48
        .size:           8
        .value_kind:     global_buffer
      - .offset:         56
        .size:           4
        .value_kind:     by_value
      - .actual_access:  read_only
        .address_space:  global
        .offset:         64
        .size:           8
        .value_kind:     global_buffer
      - .actual_access:  read_only
        .address_space:  global
        .offset:         72
        .size:           8
        .value_kind:     global_buffer
      - .address_space:  global
        .offset:         80
        .size:           8
        .value_kind:     global_buffer
    .group_segment_fixed_size: 0
    .kernarg_segment_align: 8
    .kernarg_segment_size: 88
    .language:       OpenCL C
    .language_version:
      - 2
      - 0
    .max_flat_workgroup_size: 51
    .name:           fft_rtc_fwd_len1683_factors_17_3_11_3_wgs_51_tpt_51_halfLds_half_ip_CI_unitstride_sbrr_dirReg
    .private_segment_fixed_size: 0
    .sgpr_count:     23
    .sgpr_spill_count: 0
    .symbol:         fft_rtc_fwd_len1683_factors_17_3_11_3_wgs_51_tpt_51_halfLds_half_ip_CI_unitstride_sbrr_dirReg.kd
    .uniform_work_group_size: 1
    .uses_dynamic_stack: false
    .vgpr_count:     133
    .vgpr_spill_count: 0
    .wavefront_size: 32
    .workgroup_processor_mode: 1
amdhsa.target:   amdgcn-amd-amdhsa--gfx1030
amdhsa.version:
  - 1
  - 2
...

	.end_amdgpu_metadata
